;; amdgpu-corpus repo=ROCm/rocFFT kind=compiled arch=gfx906 opt=O3
	.text
	.amdgcn_target "amdgcn-amd-amdhsa--gfx906"
	.amdhsa_code_object_version 6
	.protected	bluestein_single_fwd_len12288_dim1_half_op_CI_CI ; -- Begin function bluestein_single_fwd_len12288_dim1_half_op_CI_CI
	.globl	bluestein_single_fwd_len12288_dim1_half_op_CI_CI
	.p2align	8
	.type	bluestein_single_fwd_len12288_dim1_half_op_CI_CI,@function
bluestein_single_fwd_len12288_dim1_half_op_CI_CI: ; @bluestein_single_fwd_len12288_dim1_half_op_CI_CI
; %bb.0:
	s_load_dwordx4 s[16:19], s[4:5], 0x28
	s_mov_b64 s[22:23], s[2:3]
	s_mov_b64 s[20:21], s[0:1]
	s_add_u32 s20, s20, s7
	s_mov_b32 s7, 0
	s_waitcnt lgkmcnt(0)
	v_mov_b32_e32 v1, s16
	v_mov_b32_e32 v2, s17
	v_cmp_lt_u64_e32 vcc, s[6:7], v[1:2]
	s_addc_u32 s21, s21, 0
	v_mov_b32_e32 v47, v0
	s_and_saveexec_b64 s[0:1], vcc
	s_cbranch_execz .LBB0_2
; %bb.1:
	s_load_dwordx4 s[8:11], s[4:5], 0x18
	s_load_dwordx4 s[0:3], s[4:5], 0x0
	v_mov_b32_e32 v0, s6
	v_mov_b32_e32 v1, s7
	;; [unrolled: 1-line block ×3, first 2 shown]
	s_waitcnt lgkmcnt(0)
	s_load_dwordx4 s[12:15], s[8:9], 0x0
	v_lshlrev_b32_e32 v50, 2, v47
	v_or_b32_e32 v37, 0x600, v47
	v_lshlrev_b32_e32 v83, 2, v37
	v_or_b32_e32 v84, 0x4800, v50
	s_waitcnt lgkmcnt(0)
	v_mad_u64_u32 v[1:2], s[6:7], s14, v0, 0
	v_mad_u64_u32 v[3:4], s[6:7], s12, v47, 0
	buffer_store_dword v0, off, s[20:23], 0 offset:20 ; 4-byte Folded Spill
	s_nop 0
	buffer_store_dword v1, off, s[20:23], 0 offset:24 ; 4-byte Folded Spill
	s_mul_i32 s8, s13, 0x1800
	s_mul_hi_u32 s14, s12, 0x1800
	global_load_dword v68, v50, s[0:1]
	global_load_dword v67, v83, s[0:1]
	;; [unrolled: 1-line block ×3, first 2 shown]
	v_or_b32_e32 v85, 0x6000, v50
	global_load_dword v64, v85, s[0:1]
	v_or_b32_e32 v86, 0x7800, v50
	global_load_dword v63, v86, s[0:1]
	;; [unrolled: 2-line block ×4, first 2 shown]
	v_or_b32_e32 v82, 0x2000, v50
	v_or_b32_e32 v91, 0x3800, v50
	;; [unrolled: 1-line block ×8, first 2 shown]
	v_lshlrev_b32_e32 v102, 2, v38
	v_or_b32_e32 v90, 0x2800, v50
	v_or_b32_e32 v93, 0x4000, v50
	;; [unrolled: 1-line block ×7, first 2 shown]
	s_load_dwordx2 s[4:5], s[4:5], 0x38
	v_mad_u64_u32 v[5:6], s[6:7], s15, v0, v[2:3]
	s_mul_i32 s15, s12, 0x1800
	v_or_b32_e32 v0, 0x3000, v50
	v_mad_u64_u32 v[6:7], s[6:7], s13, v47, v[4:5]
	v_mov_b32_e32 v2, v5
	v_lshlrev_b64 v[1:2], 2, v[1:2]
	v_mov_b32_e32 v4, v6
	v_add_co_u32_e32 v5, vcc, s18, v1
	v_addc_co_u32_e32 v6, vcc, v8, v2, vcc
	v_lshlrev_b64 v[1:2], 2, v[3:4]
	s_add_u32 s6, s0, 0xc000
	v_add_co_u32_e32 v1, vcc, v5, v1
	v_addc_co_u32_e32 v2, vcc, v6, v2, vcc
	global_load_dword v3, v[1:2], off
	s_addc_u32 s7, s1, 0
	s_add_i32 s14, s14, s8
	v_mov_b32_e32 v4, s14
	v_add_co_u32_e32 v1, vcc, s15, v1
	v_addc_co_u32_e32 v2, vcc, v2, v4, vcc
	global_load_dword v4, v[1:2], off
	v_mov_b32_e32 v5, s14
	v_add_co_u32_e32 v1, vcc, s15, v1
	v_addc_co_u32_e32 v2, vcc, v2, v5, vcc
	global_load_dword v8, v[1:2], off
	global_load_dword v66, v0, s[0:1]
	v_add_co_u32_e32 v1, vcc, s15, v1
	v_addc_co_u32_e32 v2, vcc, v2, v5, vcc
	global_load_dword v9, v[1:2], off
	v_add_co_u32_e32 v1, vcc, s15, v1
	v_addc_co_u32_e32 v2, vcc, v2, v5, vcc
	global_load_dword v10, v[1:2], off
	;; [unrolled: 3-line block ×4, first 2 shown]
	v_add_co_u32_e32 v1, vcc, s15, v1
	v_addc_co_u32_e32 v2, vcc, v2, v5, vcc
	v_mov_b32_e32 v0, 0xffff6000
	global_load_dword v13, v[1:2], off
	v_mad_u64_u32 v[1:2], s[8:9], s12, v0, v[1:2]
	s_mul_i32 s8, s13, 0xffff6000
	s_sub_i32 s13, s8, s12
	v_add_u32_e32 v2, s13, v2
	global_load_dword v14, v[1:2], off
	global_load_dword v60, v50, s[0:1] offset:2048
	v_add_co_u32_e32 v1, vcc, s15, v1
	v_addc_co_u32_e32 v2, vcc, v2, v5, vcc
	global_load_dword v15, v[1:2], off
	global_load_dword v59, v82, s[0:1]
	v_add_co_u32_e32 v1, vcc, s15, v1
	v_addc_co_u32_e32 v2, vcc, v2, v5, vcc
	global_load_dword v16, v[1:2], off
	global_load_dword v58, v91, s[0:1]
	;; [unrolled: 4-line block ×3, first 2 shown]
	global_load_dword v55, v100, s[0:1]
	global_load_dword v54, v98, s[0:1]
	;; [unrolled: 1-line block ×3, first 2 shown]
	v_add_co_u32_e32 v6, vcc, s15, v6
	v_mov_b32_e32 v0, 0xffff6000
	s_load_dwordx4 s[8:11], s[10:11], 0x0
	v_mov_b32_e32 v20, s14
	v_mov_b32_e32 v21, s14
	;; [unrolled: 1-line block ×5, first 2 shown]
	s_waitcnt vmcnt(19)
	v_lshrrev_b32_e32 v1, 16, v3
	v_mul_f16_sdwa v2, v68, v1 dst_sel:DWORD dst_unused:UNUSED_PAD src0_sel:WORD_1 src1_sel:DWORD
	v_fma_f16 v2, v68, v3, v2
	v_mul_f16_sdwa v3, v68, v3 dst_sel:DWORD dst_unused:UNUSED_PAD src0_sel:WORD_1 src1_sel:DWORD
	v_fma_f16 v1, v68, v1, -v3
	v_pack_b32_f16 v17, v2, v1
	s_waitcnt vmcnt(18)
	v_lshrrev_b32_e32 v1, 16, v4
	v_mul_f16_sdwa v2, v67, v1 dst_sel:DWORD dst_unused:UNUSED_PAD src0_sel:WORD_1 src1_sel:DWORD
	v_mul_f16_sdwa v3, v67, v4 dst_sel:DWORD dst_unused:UNUSED_PAD src0_sel:WORD_1 src1_sel:DWORD
	v_fma_f16 v2, v67, v4, v2
	v_fma_f16 v1, v67, v1, -v3
	v_pack_b32_f16 v4, v2, v1
	s_waitcnt vmcnt(17)
	v_lshrrev_b32_e32 v1, 16, v8
	s_waitcnt vmcnt(16)
	v_mul_f16_sdwa v2, v66, v1 dst_sel:DWORD dst_unused:UNUSED_PAD src0_sel:WORD_1 src1_sel:DWORD
	v_mul_f16_sdwa v3, v66, v8 dst_sel:DWORD dst_unused:UNUSED_PAD src0_sel:WORD_1 src1_sel:DWORD
	v_fma_f16 v2, v66, v8, v2
	v_fma_f16 v1, v66, v1, -v3
	v_pack_b32_f16 v8, v2, v1
	s_waitcnt vmcnt(15)
	v_lshrrev_b32_e32 v1, 16, v9
	v_mul_f16_sdwa v2, v65, v1 dst_sel:DWORD dst_unused:UNUSED_PAD src0_sel:WORD_1 src1_sel:DWORD
	v_mul_f16_sdwa v3, v65, v9 dst_sel:DWORD dst_unused:UNUSED_PAD src0_sel:WORD_1 src1_sel:DWORD
	v_fma_f16 v2, v65, v9, v2
	v_fma_f16 v1, v65, v1, -v3
	v_pack_b32_f16 v3, v2, v1
	s_waitcnt vmcnt(14)
	v_lshrrev_b32_e32 v1, 16, v10
	;; [unrolled: 7-line block ×6, first 2 shown]
	s_waitcnt vmcnt(9)
	v_mul_f16_sdwa v12, v60, v9 dst_sel:DWORD dst_unused:UNUSED_PAD src0_sel:WORD_1 src1_sel:DWORD
	v_mul_f16_sdwa v13, v60, v14 dst_sel:DWORD dst_unused:UNUSED_PAD src0_sel:WORD_1 src1_sel:DWORD
	v_fma_f16 v12, v60, v14, v12
	v_fma_f16 v9, v60, v9, -v13
	v_pack_b32_f16 v9, v12, v9
	ds_write2st64_b32 v50, v17, v9 offset1:8
	s_waitcnt vmcnt(8)
	v_lshrrev_b32_e32 v9, 16, v15
	s_waitcnt vmcnt(7)
	v_mul_f16_sdwa v12, v59, v9 dst_sel:DWORD dst_unused:UNUSED_PAD src0_sel:WORD_1 src1_sel:DWORD
	v_mul_f16_sdwa v13, v59, v15 dst_sel:DWORD dst_unused:UNUSED_PAD src0_sel:WORD_1 src1_sel:DWORD
	v_fma_f16 v12, v59, v15, v12
	v_fma_f16 v9, v59, v9, -v13
	v_pack_b32_f16 v12, v12, v9
	s_waitcnt vmcnt(6)
	v_lshrrev_b32_e32 v9, 16, v16
	s_waitcnt vmcnt(5)
	v_mul_f16_sdwa v13, v58, v9 dst_sel:DWORD dst_unused:UNUSED_PAD src0_sel:WORD_1 src1_sel:DWORD
	v_mul_f16_sdwa v14, v58, v16 dst_sel:DWORD dst_unused:UNUSED_PAD src0_sel:WORD_1 src1_sel:DWORD
	v_fma_f16 v13, v58, v16, v13
	v_fma_f16 v9, v58, v9, -v14
	v_pack_b32_f16 v9, v13, v9
	s_waitcnt vmcnt(4)
	v_lshrrev_b32_e32 v13, 16, v5
	ds_write2st64_b32 v50, v8, v9 offset0:48 offset1:56
	s_waitcnt vmcnt(0)
	v_mul_f16_sdwa v8, v57, v13 dst_sel:DWORD dst_unused:UNUSED_PAD src0_sel:WORD_1 src1_sel:DWORD
	v_fma_f16 v14, v57, v5, v8
	v_mov_b32_e32 v8, s14
	v_addc_co_u32_e32 v7, vcc, v7, v8, vcc
	global_load_dword v15, v[6:7], off
	v_add_co_u32_e32 v6, vcc, s15, v6
	v_addc_co_u32_e32 v7, vcc, v7, v8, vcc
	global_load_dword v16, v[6:7], off
	v_add_co_u32_e32 v6, vcc, s15, v6
	;; [unrolled: 3-line block ×3, first 2 shown]
	v_addc_co_u32_e32 v7, vcc, v7, v8, vcc
	v_mad_u64_u32 v[8:9], s[16:17], s12, v0, v[6:7]
	global_load_dword v18, v[6:7], off
	v_mov_b32_e32 v7, s14
	v_add_u32_e32 v9, s13, v9
	global_load_dword v19, v[8:9], off
	global_load_dword v53, v101, s[0:1]
	global_load_dword v52, v102, s[0:1]
	v_add_co_u32_e32 v6, vcc, s15, v8
	v_addc_co_u32_e32 v7, vcc, v9, v7, vcc
	global_load_dword v8, v[6:7], off
	global_load_dword v51, v90, s[0:1]
	global_load_dword v49, v93, s[0:1]
	;; [unrolled: 1-line block ×3, first 2 shown]
	v_mov_b32_e32 v9, s14
	v_add_co_u32_e32 v6, vcc, s15, v6
	v_addc_co_u32_e32 v7, vcc, v7, v9, vcc
	global_load_dword v9, v[6:7], off
	v_add_co_u32_e32 v6, vcc, s15, v6
	v_addc_co_u32_e32 v7, vcc, v7, v20, vcc
	global_load_dword v20, v[6:7], off
	global_load_dword v28, v97, s[0:1]
	v_add_co_u32_e32 v6, vcc, s15, v6
	v_addc_co_u32_e32 v7, vcc, v7, v21, vcc
	global_load_dword v21, v[6:7], off
	global_load_dword v27, v96, s[0:1]
	v_add_co_u32_e32 v6, vcc, s15, v6
	v_addc_co_u32_e32 v7, vcc, v7, v22, vcc
	global_load_dword v22, v[6:7], off
	v_add_co_u32_e32 v6, vcc, s15, v6
	v_addc_co_u32_e32 v7, vcc, v7, v23, vcc
	global_load_dword v23, v[6:7], off
	v_or_b32_e32 v0, 0xa000, v50
	global_load_dword v25, v0, s[0:1]
	v_add_co_u32_e32 v6, vcc, s15, v6
	global_load_dword v0, v94, s[0:1]
	v_addc_co_u32_e32 v7, vcc, v7, v24, vcc
	global_load_dword v6, v[6:7], off
	v_mul_f16_sdwa v5, v57, v5 dst_sel:DWORD dst_unused:UNUSED_PAD src0_sel:WORD_1 src1_sel:DWORD
	v_fma_f16 v5, v57, v13, -v5
	v_pack_b32_f16 v5, v14, v5
	s_mov_b32 s0, 0xb9a8
	s_movk_i32 s1, 0x39a8
	s_mov_b32 s14, 0xbaee
	s_waitcnt vmcnt(20)
	v_lshrrev_b32_e32 v7, 16, v15
	v_mul_f16_sdwa v13, v56, v7 dst_sel:DWORD dst_unused:UNUSED_PAD src0_sel:WORD_1 src1_sel:DWORD
	v_mul_f16_sdwa v14, v56, v15 dst_sel:DWORD dst_unused:UNUSED_PAD src0_sel:WORD_1 src1_sel:DWORD
	v_fma_f16 v13, v56, v15, v13
	v_fma_f16 v7, v56, v7, -v14
	v_pack_b32_f16 v7, v13, v7
	ds_write2st64_b32 v50, v10, v7 offset0:96 offset1:104
	s_waitcnt vmcnt(19)
	v_lshrrev_b32_e32 v7, 16, v16
	v_mul_f16_sdwa v10, v55, v7 dst_sel:DWORD dst_unused:UNUSED_PAD src0_sel:WORD_1 src1_sel:DWORD
	v_mul_f16_sdwa v13, v55, v16 dst_sel:DWORD dst_unused:UNUSED_PAD src0_sel:WORD_1 src1_sel:DWORD
	v_fma_f16 v10, v55, v16, v10
	v_fma_f16 v7, v55, v7, -v13
	v_pack_b32_f16 v7, v10, v7
	s_waitcnt vmcnt(18)
	v_lshrrev_b32_e32 v10, 16, v17
	v_mul_f16_sdwa v13, v54, v10 dst_sel:DWORD dst_unused:UNUSED_PAD src0_sel:WORD_1 src1_sel:DWORD
	v_mul_f16_sdwa v14, v54, v17 dst_sel:DWORD dst_unused:UNUSED_PAD src0_sel:WORD_1 src1_sel:DWORD
	v_fma_f16 v13, v54, v17, v13
	v_fma_f16 v10, v54, v10, -v14
	v_pack_b32_f16 v10, v13, v10
	ds_write2st64_b32 v50, v11, v10 offset0:144 offset1:152
	s_waitcnt vmcnt(17)
	v_lshrrev_b32_e32 v10, 16, v18
	s_waitcnt vmcnt(15)
	v_mul_f16_sdwa v11, v53, v10 dst_sel:DWORD dst_unused:UNUSED_PAD src0_sel:WORD_1 src1_sel:DWORD
	v_mul_f16_sdwa v13, v53, v18 dst_sel:DWORD dst_unused:UNUSED_PAD src0_sel:WORD_1 src1_sel:DWORD
	v_fma_f16 v11, v53, v18, v11
	v_fma_f16 v10, v53, v10, -v13
	v_pack_b32_f16 v10, v11, v10
	v_lshrrev_b32_e32 v11, 16, v19
	s_waitcnt vmcnt(14)
	v_mul_f16_sdwa v13, v52, v11 dst_sel:DWORD dst_unused:UNUSED_PAD src0_sel:WORD_1 src1_sel:DWORD
	v_mul_f16_sdwa v14, v52, v19 dst_sel:DWORD dst_unused:UNUSED_PAD src0_sel:WORD_1 src1_sel:DWORD
	v_fma_f16 v13, v52, v19, v13
	v_fma_f16 v11, v52, v11, -v14
	v_pack_b32_f16 v11, v13, v11
	ds_write2st64_b32 v50, v11, v4 offset0:16 offset1:24
	s_waitcnt vmcnt(13)
	v_lshrrev_b32_e32 v4, 16, v8
	s_waitcnt vmcnt(12)
	v_mul_f16_sdwa v11, v51, v4 dst_sel:DWORD dst_unused:UNUSED_PAD src0_sel:WORD_1 src1_sel:DWORD
	v_fma_f16 v11, v51, v8, v11
	v_mul_f16_sdwa v8, v51, v8 dst_sel:DWORD dst_unused:UNUSED_PAD src0_sel:WORD_1 src1_sel:DWORD
	v_fma_f16 v4, v51, v4, -v8
	v_pack_b32_f16 v4, v11, v4
	ds_write2st64_b32 v50, v12, v4 offset0:32 offset1:40
	s_waitcnt vmcnt(9)
	v_lshrrev_b32_e32 v4, 16, v9
	v_mul_f16_sdwa v8, v49, v4 dst_sel:DWORD dst_unused:UNUSED_PAD src0_sel:WORD_1 src1_sel:DWORD
	v_fma_f16 v8, v49, v9, v8
	v_mul_f16_sdwa v9, v49, v9 dst_sel:DWORD dst_unused:UNUSED_PAD src0_sel:WORD_1 src1_sel:DWORD
	v_fma_f16 v4, v49, v4, -v9
	v_pack_b32_f16 v4, v8, v4
	ds_write2st64_b32 v50, v4, v3 offset0:64 offset1:72
	s_waitcnt vmcnt(8)
	v_lshrrev_b32_e32 v3, 16, v20
	s_waitcnt vmcnt(7)
	v_mul_f16_sdwa v4, v28, v3 dst_sel:DWORD dst_unused:UNUSED_PAD src0_sel:WORD_1 src1_sel:DWORD
	v_mul_f16_sdwa v8, v28, v20 dst_sel:DWORD dst_unused:UNUSED_PAD src0_sel:WORD_1 src1_sel:DWORD
	v_fma_f16 v4, v28, v20, v4
	v_fma_f16 v3, v28, v3, -v8
	v_pack_b32_f16 v3, v4, v3
	ds_write2st64_b32 v50, v5, v3 offset0:80 offset1:88
	s_waitcnt vmcnt(6)
	v_lshrrev_b32_e32 v3, 16, v21
	s_waitcnt vmcnt(5)
	v_mul_f16_sdwa v4, v27, v3 dst_sel:DWORD dst_unused:UNUSED_PAD src0_sel:WORD_1 src1_sel:DWORD
	v_mul_f16_sdwa v5, v27, v21 dst_sel:DWORD dst_unused:UNUSED_PAD src0_sel:WORD_1 src1_sel:DWORD
	v_fma_f16 v4, v27, v21, v4
	v_fma_f16 v3, v27, v3, -v5
	v_pack_b32_f16 v3, v4, v3
	ds_write2st64_b32 v50, v3, v2 offset0:112 offset1:120
	s_waitcnt vmcnt(4)
	v_lshrrev_b32_e32 v2, 16, v22
	v_mul_f16_sdwa v3, v26, v2 dst_sel:DWORD dst_unused:UNUSED_PAD src0_sel:WORD_1 src1_sel:DWORD
	v_mul_f16_sdwa v4, v26, v22 dst_sel:DWORD dst_unused:UNUSED_PAD src0_sel:WORD_1 src1_sel:DWORD
	v_fma_f16 v3, v26, v22, v3
	v_fma_f16 v2, v26, v2, -v4
	v_pack_b32_f16 v2, v3, v2
	ds_write2st64_b32 v50, v7, v2 offset0:128 offset1:136
	s_waitcnt vmcnt(3)
	v_lshrrev_b32_e32 v2, 16, v23
	s_waitcnt vmcnt(2)
	v_mul_f16_sdwa v3, v25, v2 dst_sel:DWORD dst_unused:UNUSED_PAD src0_sel:WORD_1 src1_sel:DWORD
	v_mul_f16_sdwa v4, v25, v23 dst_sel:DWORD dst_unused:UNUSED_PAD src0_sel:WORD_1 src1_sel:DWORD
	v_fma_f16 v3, v25, v23, v3
	v_fma_f16 v2, v25, v2, -v4
	v_pack_b32_f16 v2, v3, v2
	ds_write2st64_b32 v50, v2, v1 offset0:160 offset1:168
	s_waitcnt vmcnt(0)
	v_lshrrev_b32_e32 v1, 16, v6
	v_mul_f16_sdwa v2, v0, v1 dst_sel:DWORD dst_unused:UNUSED_PAD src0_sel:WORD_1 src1_sel:DWORD
	v_mul_f16_sdwa v3, v0, v6 dst_sel:DWORD dst_unused:UNUSED_PAD src0_sel:WORD_1 src1_sel:DWORD
	v_fma_f16 v2, v0, v6, v2
	v_fma_f16 v1, v0, v1, -v3
	v_pack_b32_f16 v1, v2, v1
	buffer_store_dword v28, off, s[20:23], 0 offset:16 ; 4-byte Folded Spill
	buffer_store_dword v27, off, s[20:23], 0 offset:12 ; 4-byte Folded Spill
	;; [unrolled: 1-line block ×4, first 2 shown]
	buffer_store_dword v0, off, s[20:23], 0 ; 4-byte Folded Spill
	ds_write2st64_b32 v50, v10, v1 offset0:176 offset1:184
	s_waitcnt vmcnt(0) lgkmcnt(0)
	s_barrier
	ds_read2st64_b32 v[1:2], v50 offset1:8
	ds_read2st64_b32 v[3:4], v50 offset0:16 offset1:24
	ds_read2st64_b32 v[5:6], v50 offset0:48 offset1:56
	ds_read2st64_b32 v[7:8], v50 offset0:64 offset1:72
	ds_read2st64_b32 v[9:10], v50 offset0:96 offset1:104
	ds_read2st64_b32 v[11:12], v50 offset0:112 offset1:120
	ds_read2st64_b32 v[13:14], v50 offset0:32 offset1:40
	ds_read2st64_b32 v[15:16], v50 offset0:144 offset1:152
	ds_read2st64_b32 v[17:18], v50 offset0:80 offset1:88
	ds_read2st64_b32 v[19:20], v50 offset0:160 offset1:168
	s_waitcnt lgkmcnt(9)
	v_lshrrev_b32_e32 v25, 16, v1
	s_waitcnt lgkmcnt(8)
	v_lshrrev_b32_e32 v26, 16, v4
	;; [unrolled: 2-line block ×4, first 2 shown]
	s_waitcnt lgkmcnt(5)
	v_sub_f16_e32 v41, v1, v9
	s_waitcnt lgkmcnt(2)
	v_sub_f16_e32 v42, v5, v15
	v_sub_f16_e32 v69, v4, v12
	s_waitcnt lgkmcnt(0)
	v_sub_f16_e32 v70, v8, v20
	v_sub_f16_sdwa v9, v25, v9 dst_sel:DWORD dst_unused:UNUSED_PAD src0_sel:DWORD src1_sel:WORD_1
	v_fma_f16 v1, v1, 2.0, -v41
	v_sub_f16_sdwa v15, v27, v15 dst_sel:DWORD dst_unused:UNUSED_PAD src0_sel:DWORD src1_sel:WORD_1
	v_fma_f16 v5, v5, 2.0, -v42
	;; [unrolled: 2-line block ×4, first 2 shown]
	ds_read2st64_b32 v[21:22], v50 offset0:128 offset1:136
	ds_read2st64_b32 v[23:24], v50 offset0:176 offset1:184
	v_fma_f16 v27, v27, 2.0, -v15
	v_fma_f16 v28, v28, 2.0, -v20
	v_sub_f16_e32 v5, v1, v5
	v_sub_f16_e32 v15, v41, v15
	v_add_f16_e32 v42, v9, v42
	v_sub_f16_e32 v8, v4, v8
	v_sub_f16_e32 v20, v69, v20
	v_add_f16_e32 v70, v12, v70
	v_fma_f16 v25, v25, 2.0, -v9
	v_fma_f16 v26, v26, 2.0, -v12
	;; [unrolled: 1-line block ×8, first 2 shown]
	v_sub_f16_e32 v71, v1, v4
	v_fma_f16 v4, v69, s0, v41
	v_fma_f16 v72, v12, s0, v9
	;; [unrolled: 1-line block ×8, first 2 shown]
	v_lshrrev_b32_e32 v29, 16, v2
	v_lshrrev_b32_e32 v30, 16, v13
	v_fma_f16 v4, v15, 2.0, -v70
	v_fma_f16 v15, v42, 2.0, -v20
	v_sub_f16_e32 v42, v2, v10
	v_sub_f16_e32 v69, v6, v16
	s_waitcnt lgkmcnt(1)
	v_sub_f16_e32 v73, v13, v21
	s_waitcnt lgkmcnt(0)
	v_sub_f16_e32 v74, v17, v23
	v_lshrrev_b32_e32 v31, 16, v6
	v_lshrrev_b32_e32 v32, 16, v17
	v_sub_f16_sdwa v10, v29, v10 dst_sel:DWORD dst_unused:UNUSED_PAD src0_sel:DWORD src1_sel:WORD_1
	v_fma_f16 v2, v2, 2.0, -v42
	v_fma_f16 v6, v6, 2.0, -v69
	v_sub_f16_sdwa v21, v30, v21 dst_sel:DWORD dst_unused:UNUSED_PAD src0_sel:DWORD src1_sel:WORD_1
	v_fma_f16 v13, v13, 2.0, -v73
	v_fma_f16 v17, v17, 2.0, -v74
	v_sub_f16_sdwa v16, v31, v16 dst_sel:DWORD dst_unused:UNUSED_PAD src0_sel:DWORD src1_sel:WORD_1
	v_sub_f16_sdwa v23, v32, v23 dst_sel:DWORD dst_unused:UNUSED_PAD src0_sel:DWORD src1_sel:WORD_1
	v_sub_f16_e32 v6, v2, v6
	v_add_f16_e32 v69, v10, v69
	v_sub_f16_e32 v17, v13, v17
	v_add_f16_e32 v74, v21, v74
	v_fma_f16 v29, v29, 2.0, -v10
	v_fma_f16 v31, v31, 2.0, -v16
	;; [unrolled: 1-line block ×5, first 2 shown]
	v_sub_f16_e32 v16, v42, v16
	v_fma_f16 v10, v10, 2.0, -v69
	v_fma_f16 v13, v13, 2.0, -v17
	v_sub_f16_e32 v23, v73, v23
	v_fma_f16 v21, v21, 2.0, -v74
	v_fma_f16 v42, v42, 2.0, -v16
	;; [unrolled: 1-line block ×3, first 2 shown]
	v_sub_f16_e32 v13, v2, v13
	v_fma_f16 v76, v21, s0, v10
	v_fma_f16 v75, v2, 2.0, -v13
	v_fma_f16 v2, v73, s0, v42
	v_fma_f16 v73, v73, s1, v76
	;; [unrolled: 1-line block ×7, first 2 shown]
	v_fma_f16 v76, v69, 2.0, -v23
	v_sub_f16_e32 v2, v3, v11
	v_sub_f16_e32 v69, v7, v19
	;; [unrolled: 1-line block ×4, first 2 shown]
	v_lshrrev_b32_e32 v33, 16, v3
	v_lshrrev_b32_e32 v34, 16, v14
	;; [unrolled: 1-line block ×4, first 2 shown]
	v_fma_f16 v3, v3, 2.0, -v2
	v_fma_f16 v7, v7, 2.0, -v69
	;; [unrolled: 1-line block ×4, first 2 shown]
	v_sub_f16_sdwa v19, v35, v19 dst_sel:DWORD dst_unused:UNUSED_PAD src0_sel:DWORD src1_sel:WORD_1
	v_sub_f16_sdwa v24, v36, v24 dst_sel:DWORD dst_unused:UNUSED_PAD src0_sel:DWORD src1_sel:WORD_1
	v_sub_f16_e32 v7, v3, v7
	v_sub_f16_e32 v18, v14, v18
	v_sub_f16_sdwa v11, v33, v11 dst_sel:DWORD dst_unused:UNUSED_PAD src0_sel:DWORD src1_sel:WORD_1
	v_fma_f16 v35, v35, 2.0, -v19
	v_sub_f16_sdwa v22, v34, v22 dst_sel:DWORD dst_unused:UNUSED_PAD src0_sel:DWORD src1_sel:WORD_1
	v_fma_f16 v36, v36, 2.0, -v24
	v_fma_f16 v3, v3, 2.0, -v7
	v_sub_f16_e32 v19, v2, v19
	v_fma_f16 v14, v14, 2.0, -v18
	v_sub_f16_e32 v24, v77, v24
	v_sub_f16_e32 v27, v25, v27
	;; [unrolled: 1-line block ×3, first 2 shown]
	v_add_f16_e32 v69, v11, v69
	v_fma_f16 v2, v2, 2.0, -v19
	v_add_f16_e32 v78, v22, v78
	v_fma_f16 v77, v77, 2.0, -v24
	v_sub_f16_e32 v14, v3, v14
	v_fma_f16 v25, v25, 2.0, -v27
	v_fma_f16 v26, v26, 2.0, -v28
	;; [unrolled: 1-line block ×7, first 2 shown]
	v_fma_f16 v3, v77, s0, v2
	v_sub_f16_e32 v26, v25, v26
	v_sub_f16_e32 v28, v5, v28
	v_add_f16_e32 v8, v27, v8
	v_sub_f16_e32 v31, v29, v31
	v_sub_f16_e32 v32, v30, v32
	v_fma_f16 v80, v22, s0, v11
	v_fma_f16 v22, v22, s0, v3
	;; [unrolled: 1-line block ×3, first 2 shown]
	v_fma_f16 v1, v1, 2.0, -v71
	v_fma_f16 v25, v25, 2.0, -v26
	;; [unrolled: 1-line block ×8, first 2 shown]
	v_fma_f16 v77, v77, s1, v80
	v_fma_f16 v80, v2, 2.0, -v22
	v_fma_f16 v2, v24, s1, v19
	v_fma_f16 v24, v24, s1, v3
	v_sub_f16_e32 v30, v29, v30
	v_sub_f16_e32 v32, v6, v32
	v_add_f16_e32 v17, v31, v17
	v_sub_f16_e32 v35, v33, v35
	v_sub_f16_e32 v36, v34, v36
	v_fma_f16 v78, v78, s0, v2
	v_fma_f16 v81, v69, 2.0, -v24
	v_lshlrev_b32_e32 v69, 5, v47
	v_pack_b32_f16 v4, v4, v15
	v_pack_b32_f16 v3, v5, v27
	;; [unrolled: 1-line block ×4, first 2 shown]
	v_fma_f16 v29, v29, 2.0, -v30
	v_fma_f16 v42, v42, 2.0, -v21
	;; [unrolled: 1-line block ×8, first 2 shown]
	s_barrier
	ds_write_b128 v69, v[1:4]
	v_pack_b32_f16 v4, v70, v20
	v_pack_b32_f16 v3, v28, v8
	;; [unrolled: 1-line block ×4, first 2 shown]
	v_and_b32_e32 v9, 7, v47
	v_sub_f16_e32 v34, v33, v34
	v_sub_f16_e32 v36, v7, v36
	v_add_f16_e32 v18, v35, v18
	ds_write_b128 v69, v[1:4] offset:16
	v_pack_b32_f16 v4, v16, v76
	v_pack_b32_f16 v3, v6, v31
	;; [unrolled: 1-line block ×4, first 2 shown]
	v_mad_u64_u32 v[5:6], s[12:13], v9, 28, s[2:3]
	v_fma_f16 v33, v33, 2.0, -v34
	v_fma_f16 v11, v11, 2.0, -v77
	;; [unrolled: 1-line block ×5, first 2 shown]
	v_lshlrev_b32_e32 v0, 5, v39
	ds_write_b128 v69, v[1:4] offset:16384
	v_pack_b32_f16 v4, v74, v23
	v_pack_b32_f16 v3, v32, v17
	;; [unrolled: 1-line block ×4, first 2 shown]
	ds_write_b128 v0, v[1:4] offset:16
	v_pack_b32_f16 v4, v19, v81
	v_pack_b32_f16 v3, v7, v35
	;; [unrolled: 1-line block ×4, first 2 shown]
	v_lshlrev_b32_e32 v71, 5, v38
	ds_write_b128 v69, v[1:4] offset:32768
	v_pack_b32_f16 v4, v78, v24
	v_pack_b32_f16 v3, v36, v18
	;; [unrolled: 1-line block ×4, first 2 shown]
	buffer_store_dword v0, off, s[20:23], 0 offset:28 ; 4-byte Folded Spill
	ds_write_b128 v71, v[1:4] offset:16
	s_waitcnt vmcnt(0) lgkmcnt(0)
	s_barrier
	global_load_dwordx4 v[1:4], v[5:6], off
	global_load_dwordx3 v[25:27], v[5:6], off offset:16
	ds_read2st64_b32 v[7:8], v50 offset1:8
	ds_read2st64_b32 v[5:6], v50 offset0:16 offset1:24
	ds_read2st64_b32 v[15:16], v50 offset0:48 offset1:56
	;; [unrolled: 1-line block ×7, first 2 shown]
	s_waitcnt lgkmcnt(6)
	v_lshrrev_b32_e32 v72, 16, v6
	s_waitcnt lgkmcnt(5)
	v_lshrrev_b32_e32 v73, 16, v15
	;; [unrolled: 2-line block ×6, first 2 shown]
	ds_read2st64_b32 v[30:31], v50 offset0:32 offset1:40
	s_waitcnt lgkmcnt(1)
	v_lshrrev_b32_e32 v78, 16, v29
	ds_read2st64_b32 v[32:33], v50 offset0:80 offset1:88
	v_lshrrev_b32_e32 v80, 16, v16
	ds_read2st64_b32 v[34:35], v50 offset0:128 offset1:136
	s_waitcnt lgkmcnt(2)
	v_lshrrev_b32_e32 v79, 16, v30
	v_lshrrev_b32_e32 v87, 16, v20
	ds_read2st64_b32 v[41:42], v50 offset0:176 offset1:184
	s_waitcnt lgkmcnt(2)
	v_lshrrev_b32_e32 v81, 16, v32
	v_lshrrev_b32_e32 v106, 16, v24
	s_waitcnt lgkmcnt(1)
	v_lshrrev_b32_e32 v105, 16, v34
	v_lshrrev_b32_e32 v108, 16, v31
	;; [unrolled: 3-line block ×3, first 2 shown]
	v_lshrrev_b32_e32 v110, 16, v33
	v_lshrrev_b32_e32 v111, 16, v21
	;; [unrolled: 1-line block ×8, first 2 shown]
	v_lshlrev_b32_e32 v12, 3, v47
	s_movk_i32 s12, 0xfc0
	v_and_or_b32 v12, v12, s12, v9
	s_waitcnt vmcnt(0)
	s_barrier
	v_lshlrev_b32_e32 v11, 3, v39
	s_movk_i32 s12, 0x1fc0
	v_lshlrev_b32_e32 v10, 3, v38
	v_mul_f16_sdwa v115, v72, v1 dst_sel:DWORD dst_unused:UNUSED_PAD src0_sel:DWORD src1_sel:WORD_1
	v_fma_f16 v115, v6, v1, -v115
	v_mul_f16_sdwa v6, v6, v1 dst_sel:DWORD dst_unused:UNUSED_PAD src0_sel:DWORD src1_sel:WORD_1
	v_fma_f16 v72, v72, v1, v6
	v_mul_f16_sdwa v6, v73, v2 dst_sel:DWORD dst_unused:UNUSED_PAD src0_sel:DWORD src1_sel:WORD_1
	v_fma_f16 v116, v15, v2, -v6
	v_mul_f16_sdwa v6, v15, v2 dst_sel:DWORD dst_unused:UNUSED_PAD src0_sel:DWORD src1_sel:WORD_1
	v_fma_f16 v15, v73, v2, v6
	;; [unrolled: 4-line block ×7, first 2 shown]
	v_mul_f16_sdwa v6, v80, v2 dst_sel:DWORD dst_unused:UNUSED_PAD src0_sel:DWORD src1_sel:WORD_1
	v_fma_f16 v78, v16, v2, -v6
	v_mul_f16_sdwa v6, v16, v2 dst_sel:DWORD dst_unused:UNUSED_PAD src0_sel:DWORD src1_sel:WORD_1
	v_mul_f16_sdwa v16, v30, v1 dst_sel:DWORD dst_unused:UNUSED_PAD src0_sel:DWORD src1_sel:WORD_1
	v_fma_f16 v16, v79, v1, v16
	v_mul_f16_sdwa v79, v79, v1 dst_sel:DWORD dst_unused:UNUSED_PAD src0_sel:DWORD src1_sel:WORD_1
	v_fma_f16 v30, v30, v1, -v79
	v_fma_f16 v79, v80, v2, v6
	v_mul_f16_sdwa v6, v87, v4 dst_sel:DWORD dst_unused:UNUSED_PAD src0_sel:DWORD src1_sel:WORD_1
	v_fma_f16 v80, v20, v4, -v6
	v_mul_f16_sdwa v6, v20, v4 dst_sel:DWORD dst_unused:UNUSED_PAD src0_sel:DWORD src1_sel:WORD_1
	v_mul_f16_sdwa v20, v32, v3 dst_sel:DWORD dst_unused:UNUSED_PAD src0_sel:DWORD src1_sel:WORD_1
	v_fma_f16 v20, v81, v3, v20
	v_mul_f16_sdwa v81, v81, v3 dst_sel:DWORD dst_unused:UNUSED_PAD src0_sel:DWORD src1_sel:WORD_1
	v_fma_f16 v32, v32, v3, -v81
	v_fma_f16 v81, v87, v4, v6
	;; [unrolled: 8-line block ×3, first 2 shown]
	v_mul_f16_sdwa v6, v108, v1 dst_sel:DWORD dst_unused:UNUSED_PAD src0_sel:DWORD src1_sel:WORD_1
	v_mul_f16_sdwa v106, v41, v27 dst_sel:DWORD dst_unused:UNUSED_PAD src0_sel:DWORD src1_sel:WORD_1
	v_fma_f16 v6, v31, v1, -v6
	v_mul_f16_sdwa v31, v31, v1 dst_sel:DWORD dst_unused:UNUSED_PAD src0_sel:DWORD src1_sel:WORD_1
	v_fma_f16 v106, v107, v27, v106
	v_mul_f16_sdwa v107, v107, v27 dst_sel:DWORD dst_unused:UNUSED_PAD src0_sel:DWORD src1_sel:WORD_1
	v_fma_f16 v41, v41, v27, -v107
	v_fma_f16 v31, v108, v1, v31
	v_mul_f16_sdwa v107, v109, v2 dst_sel:DWORD dst_unused:UNUSED_PAD src0_sel:DWORD src1_sel:WORD_1
	v_mul_f16_sdwa v108, v110, v3 dst_sel:DWORD dst_unused:UNUSED_PAD src0_sel:DWORD src1_sel:WORD_1
	v_fma_f16 v107, v17, v2, -v107
	v_mul_f16_sdwa v17, v17, v2 dst_sel:DWORD dst_unused:UNUSED_PAD src0_sel:DWORD src1_sel:WORD_1
	v_fma_f16 v108, v33, v3, -v108
	v_mul_f16_sdwa v33, v33, v3 dst_sel:DWORD dst_unused:UNUSED_PAD src0_sel:DWORD src1_sel:WORD_1
	v_fma_f16 v17, v109, v2, v17
	v_fma_f16 v33, v110, v3, v33
	v_mul_f16_sdwa v109, v111, v4 dst_sel:DWORD dst_unused:UNUSED_PAD src0_sel:DWORD src1_sel:WORD_1
	v_mul_f16_sdwa v110, v112, v25 dst_sel:DWORD dst_unused:UNUSED_PAD src0_sel:DWORD src1_sel:WORD_1
	v_fma_f16 v109, v21, v4, -v109
	v_mul_f16_sdwa v21, v21, v4 dst_sel:DWORD dst_unused:UNUSED_PAD src0_sel:DWORD src1_sel:WORD_1
	v_fma_f16 v110, v35, v25, -v110
	v_mul_f16_sdwa v35, v35, v25 dst_sel:DWORD dst_unused:UNUSED_PAD src0_sel:DWORD src1_sel:WORD_1
	v_sub_f16_e32 v19, v36, v19
	v_sub_f16_e32 v23, v15, v23
	;; [unrolled: 1-line block ×4, first 2 shown]
	v_fma_f16 v21, v111, v4, v21
	v_fma_f16 v35, v112, v25, v35
	v_mul_f16_sdwa v111, v113, v26 dst_sel:DWORD dst_unused:UNUSED_PAD src0_sel:DWORD src1_sel:WORD_1
	v_mul_f16_sdwa v112, v114, v27 dst_sel:DWORD dst_unused:UNUSED_PAD src0_sel:DWORD src1_sel:WORD_1
	v_sub_f16_e32 v74, v7, v74
	v_fma_f16 v36, v36, 2.0, -v19
	v_fma_f16 v15, v15, 2.0, -v23
	v_sub_f16_e32 v75, v115, v75
	v_fma_f16 v72, v72, 2.0, -v22
	v_fma_f16 v18, v18, 2.0, -v29
	v_fma_f16 v111, v28, v26, -v111
	v_mul_f16_sdwa v28, v28, v26 dst_sel:DWORD dst_unused:UNUSED_PAD src0_sel:DWORD src1_sel:WORD_1
	v_fma_f16 v112, v42, v27, -v112
	v_mul_f16_sdwa v42, v42, v27 dst_sel:DWORD dst_unused:UNUSED_PAD src0_sel:DWORD src1_sel:WORD_1
	v_sub_f16_e32 v76, v116, v76
	v_sub_f16_e32 v77, v73, v77
	;; [unrolled: 1-line block ×6, first 2 shown]
	v_fma_f16 v28, v113, v26, v28
	v_fma_f16 v42, v114, v27, v42
	v_fma_f16 v7, v7, 2.0, -v74
	v_fma_f16 v113, v116, 2.0, -v76
	;; [unrolled: 1-line block ×5, first 2 shown]
	v_add_f16_e32 v76, v19, v76
	v_fma_f16 v74, v74, 2.0, -v23
	v_fma_f16 v72, v72, 2.0, -v18
	v_add_f16_e32 v77, v22, v77
	v_fma_f16 v75, v75, 2.0, -v29
	v_fma_f16 v19, v19, 2.0, -v76
	;; [unrolled: 1-line block ×3, first 2 shown]
	v_sub_f16_e32 v115, v36, v72
	v_fma_f16 v72, v75, s0, v74
	v_fma_f16 v116, v22, s0, v19
	;; [unrolled: 1-line block ×7, first 2 shown]
	v_sub_f16_e32 v72, v8, v80
	v_sub_f16_e32 v80, v14, v81
	;; [unrolled: 1-line block ×6, first 2 shown]
	v_fma_f16 v79, v79, 2.0, -v87
	v_sub_f16_e32 v24, v16, v24
	v_sub_f16_e32 v41, v32, v41
	v_fma_f16 v20, v20, 2.0, -v105
	v_sub_f16_e32 v87, v72, v87
	v_sub_f16_e32 v105, v34, v105
	v_fma_f16 v8, v8, 2.0, -v72
	v_fma_f16 v78, v78, 2.0, -v81
	;; [unrolled: 1-line block ×4, first 2 shown]
	v_add_f16_e32 v81, v80, v81
	v_fma_f16 v72, v72, 2.0, -v87
	v_add_f16_e32 v41, v24, v41
	v_fma_f16 v34, v34, 2.0, -v105
	v_fma_f16 v14, v14, 2.0, -v80
	;; [unrolled: 1-line block ×5, first 2 shown]
	v_fma_f16 v106, v34, s0, v72
	v_fma_f16 v29, v29, s1, v116
	;; [unrolled: 1-line block ×4, first 2 shown]
	v_fma_f16 v106, v72, 2.0, -v24
	v_fma_f16 v72, v105, s1, v87
	v_fma_f16 v34, v34, s1, v116
	v_fma_f16 v116, v41, s1, v81
	v_fma_f16 v41, v41, s0, v72
	v_sub_f16_e32 v72, v5, v109
	v_sub_f16_e32 v28, v17, v28
	;; [unrolled: 1-line block ×6, first 2 shown]
	v_fma_f16 v17, v17, 2.0, -v28
	v_sub_f16_e32 v35, v31, v35
	v_sub_f16_e32 v111, v108, v112
	v_fma_f16 v33, v33, 2.0, -v42
	v_sub_f16_e32 v28, v72, v28
	v_sub_f16_e32 v42, v110, v42
	;; [unrolled: 1-line block ×4, first 2 shown]
	v_fma_f16 v5, v5, 2.0, -v72
	v_fma_f16 v107, v107, 2.0, -v109
	;; [unrolled: 1-line block ×4, first 2 shown]
	v_add_f16_e32 v109, v21, v109
	v_fma_f16 v72, v72, 2.0, -v28
	v_add_f16_e32 v111, v35, v111
	v_fma_f16 v110, v110, 2.0, -v42
	v_fma_f16 v7, v7, 2.0, -v113
	;; [unrolled: 1-line block ×7, first 2 shown]
	v_fma_f16 v112, v110, s0, v72
	v_sub_f16_e32 v114, v7, v114
	v_fma_f16 v105, v105, s1, v116
	v_fma_f16 v116, v35, s0, v21
	;; [unrolled: 1-line block ×3, first 2 shown]
	v_fma_f16 v7, v7, 2.0, -v114
	v_fma_f16 v36, v36, 2.0, -v115
	v_fma_f16 v74, v74, 2.0, -v22
	v_fma_f16 v19, v19, 2.0, -v75
	v_sub_f16_e32 v18, v113, v18
	v_add_f16_e32 v73, v15, v73
	v_fma_f16 v112, v72, 2.0, -v35
	v_fma_f16 v72, v42, s1, v28
	v_fma_f16 v113, v113, 2.0, -v18
	v_fma_f16 v15, v15, 2.0, -v73
	;; [unrolled: 1-line block ×4, first 2 shown]
	v_fma_f16 v110, v110, s1, v116
	v_fma_f16 v116, v111, s1, v109
	;; [unrolled: 1-line block ×3, first 2 shown]
	v_lshlrev_b32_e32 v72, 2, v12
	v_pack_b32_f16 v7, v7, v36
	v_pack_b32_f16 v12, v74, v19
	v_sub_f16_e32 v78, v8, v78
	v_sub_f16_e32 v79, v14, v79
	;; [unrolled: 1-line block ×4, first 2 shown]
	ds_write2_b32 v72, v7, v12 offset1:8
	v_pack_b32_f16 v7, v113, v15
	v_pack_b32_f16 v12, v23, v76
	v_fma_f16 v8, v8, 2.0, -v78
	v_fma_f16 v14, v14, 2.0, -v79
	;; [unrolled: 1-line block ×4, first 2 shown]
	ds_write2_b32 v72, v7, v12 offset0:16 offset1:24
	v_pack_b32_f16 v7, v114, v115
	v_pack_b32_f16 v12, v22, v75
	v_sub_f16_e32 v30, v8, v30
	v_sub_f16_e32 v16, v14, v16
	ds_write2_b32 v72, v7, v12 offset0:32 offset1:40
	v_pack_b32_f16 v7, v18, v73
	v_pack_b32_f16 v12, v77, v29
	v_fma_f16 v8, v8, 2.0, -v30
	v_fma_f16 v14, v14, 2.0, -v16
	;; [unrolled: 1-line block ×3, first 2 shown]
	v_sub_f16_e32 v20, v78, v20
	v_add_f16_e32 v32, v79, v32
	ds_write2_b32 v72, v7, v12 offset0:48 offset1:56
	v_and_or_b32 v7, v11, s12, v9
	v_fma_f16 v78, v78, 2.0, -v20
	v_fma_f16 v79, v79, 2.0, -v32
	;; [unrolled: 1-line block ×4, first 2 shown]
	v_lshlrev_b32_e32 v73, 2, v7
	v_pack_b32_f16 v7, v8, v14
	v_pack_b32_f16 v8, v106, v80
	v_sub_f16_e32 v107, v5, v107
	v_sub_f16_e32 v17, v13, v17
	;; [unrolled: 1-line block ×4, first 2 shown]
	ds_write2_b32 v73, v7, v8 offset1:8
	v_pack_b32_f16 v7, v78, v79
	v_pack_b32_f16 v8, v87, v81
	v_fma_f16 v5, v5, 2.0, -v107
	v_fma_f16 v13, v13, 2.0, -v17
	;; [unrolled: 1-line block ×4, first 2 shown]
	ds_write2_b32 v73, v7, v8 offset0:16 offset1:24
	v_pack_b32_f16 v7, v30, v16
	v_pack_b32_f16 v8, v24, v34
	v_sub_f16_e32 v6, v5, v6
	v_sub_f16_e32 v31, v13, v31
	ds_write2_b32 v73, v7, v8 offset0:32 offset1:40
	v_pack_b32_f16 v7, v20, v32
	v_pack_b32_f16 v8, v41, v105
	s_movk_i32 s12, 0x2fc0
	v_fma_f16 v5, v5, 2.0, -v6
	v_fma_f16 v13, v13, 2.0, -v31
	;; [unrolled: 1-line block ×3, first 2 shown]
	v_sub_f16_e32 v33, v107, v33
	v_add_f16_e32 v108, v17, v108
	v_fma_f16 v42, v42, s1, v116
	ds_write2_b32 v73, v7, v8 offset0:48 offset1:56
	v_and_or_b32 v7, v10, s12, v9
	v_fma_f16 v107, v107, 2.0, -v33
	v_fma_f16 v17, v17, 2.0, -v108
	;; [unrolled: 1-line block ×4, first 2 shown]
	v_lshlrev_b32_e32 v74, 2, v7
	v_pack_b32_f16 v5, v5, v13
	v_pack_b32_f16 v7, v112, v21
	ds_write2_b32 v74, v5, v7 offset1:8
	v_pack_b32_f16 v5, v107, v17
	v_pack_b32_f16 v7, v28, v109
	ds_write2_b32 v74, v5, v7 offset0:16 offset1:24
	v_pack_b32_f16 v5, v6, v31
	v_pack_b32_f16 v6, v35, v110
	ds_write2_b32 v74, v5, v6 offset0:32 offset1:40
	;; [unrolled: 3-line block ×3, first 2 shown]
	v_and_b32_e32 v5, 63, v47
	v_mad_u64_u32 v[6:7], s[12:13], v5, 12, s[2:3]
	s_waitcnt lgkmcnt(0)
	s_barrier
	global_load_dwordx3 v[28:30], v[6:7], off offset:224
	ds_read2st64_b32 v[9:10], v50 offset1:8
	ds_read2st64_b32 v[6:7], v50 offset0:48 offset1:56
	ds_read2st64_b32 v[11:12], v50 offset0:96 offset1:104
	;; [unrolled: 1-line block ×11, first 2 shown]
	s_waitcnt lgkmcnt(10)
	v_lshrrev_b32_e32 v35, 16, v6
	s_waitcnt lgkmcnt(9)
	v_lshrrev_b32_e32 v36, 16, v11
	s_waitcnt lgkmcnt(8)
	v_lshrrev_b32_e32 v41, 16, v13
	v_lshrrev_b32_e32 v75, 16, v7
	v_lshrrev_b32_e32 v76, 16, v12
	v_lshrrev_b32_e32 v79, 16, v14
	s_waitcnt lgkmcnt(6)
	v_lshrrev_b32_e32 v81, 16, v15
	s_waitcnt lgkmcnt(5)
	v_lshrrev_b32_e32 v87, 16, v17
	s_waitcnt lgkmcnt(4)
	v_lshrrev_b32_e32 v105, 16, v19
	v_lshrrev_b32_e32 v107, 16, v16
	v_lshrrev_b32_e32 v108, 16, v18
	v_lshrrev_b32_e32 v109, 16, v20
	;; [unrolled: 9-line block ×3, first 2 shown]
	v_lshrrev_b32_e32 v8, 16, v9
	v_lshrrev_b32_e32 v42, 16, v10
	;; [unrolled: 1-line block ×6, first 2 shown]
	s_movk_i32 s12, 0x700
	s_waitcnt vmcnt(0)
	s_barrier
	v_mul_f16_sdwa v118, v35, v28 dst_sel:DWORD dst_unused:UNUSED_PAD src0_sel:DWORD src1_sel:WORD_1
	v_fma_f16 v118, v6, v28, -v118
	v_mul_f16_sdwa v6, v6, v28 dst_sel:DWORD dst_unused:UNUSED_PAD src0_sel:DWORD src1_sel:WORD_1
	v_fma_f16 v6, v35, v28, v6
	v_mul_f16_sdwa v35, v36, v29 dst_sel:DWORD dst_unused:UNUSED_PAD src0_sel:DWORD src1_sel:WORD_1
	v_fma_f16 v35, v11, v29, -v35
	v_mul_f16_sdwa v11, v11, v29 dst_sel:DWORD dst_unused:UNUSED_PAD src0_sel:DWORD src1_sel:WORD_1
	v_fma_f16 v11, v36, v29, v11
	;; [unrolled: 4-line block ×14, first 2 shown]
	v_mul_f16_sdwa v7, v113, v30 dst_sel:DWORD dst_unused:UNUSED_PAD src0_sel:DWORD src1_sel:WORD_1
	v_fma_f16 v127, v33, v30, -v7
	v_mul_f16_sdwa v7, v33, v30 dst_sel:DWORD dst_unused:UNUSED_PAD src0_sel:DWORD src1_sel:WORD_1
	v_mul_f16_sdwa v15, v22, v28 dst_sel:DWORD dst_unused:UNUSED_PAD src0_sel:DWORD src1_sel:WORD_1
	v_fma_f16 v113, v113, v30, v7
	v_mul_f16_sdwa v7, v115, v28 dst_sel:DWORD dst_unused:UNUSED_PAD src0_sel:DWORD src1_sel:WORD_1
	v_fma_f16 v115, v115, v28, v15
	v_mul_f16_sdwa v15, v116, v29 dst_sel:DWORD dst_unused:UNUSED_PAD src0_sel:DWORD src1_sel:WORD_1
	v_fma_f16 v16, v32, v29, -v15
	v_mul_f16_sdwa v15, v32, v29 dst_sel:DWORD dst_unused:UNUSED_PAD src0_sel:DWORD src1_sel:WORD_1
	v_fma_f16 v116, v116, v29, v15
	v_mul_f16_sdwa v15, v117, v30 dst_sel:DWORD dst_unused:UNUSED_PAD src0_sel:DWORD src1_sel:WORD_1
	v_fma_f16 v18, v34, v30, -v15
	v_mul_f16_sdwa v15, v34, v30 dst_sel:DWORD dst_unused:UNUSED_PAD src0_sel:DWORD src1_sel:WORD_1
	v_fma_f16 v117, v117, v30, v15
	v_sub_f16_e32 v15, v9, v35
	v_sub_f16_e32 v17, v118, v36
	;; [unrolled: 1-line block ×3, first 2 shown]
	v_fma_f16 v9, v9, 2.0, -v15
	v_sub_f16_e32 v13, v6, v13
	v_fma_f16 v19, v118, 2.0, -v17
	v_fma_f16 v8, v8, 2.0, -v11
	v_fma_f16 v20, v6, 2.0, -v13
	v_sub_f16_e32 v6, v9, v19
	v_fma_f16 v7, v22, v28, -v7
	v_sub_f16_e32 v118, v8, v20
	v_fma_f16 v20, v9, 2.0, -v6
	v_add_f16_e32 v9, v11, v17
	v_sub_f16_e32 v17, v10, v119
	v_sub_f16_e32 v22, v41, v76
	;; [unrolled: 1-line block ×3, first 2 shown]
	v_fma_f16 v12, v10, 2.0, -v17
	v_sub_f16_e32 v31, v75, v14
	v_fma_f16 v10, v41, 2.0, -v22
	v_fma_f16 v21, v8, 2.0, -v118
	v_sub_f16_e32 v8, v15, v13
	v_fma_f16 v34, v11, 2.0, -v9
	v_fma_f16 v13, v42, 2.0, -v19
	;; [unrolled: 1-line block ×3, first 2 shown]
	v_sub_f16_e32 v10, v12, v10
	v_sub_f16_e32 v11, v13, v11
	v_fma_f16 v14, v12, 2.0, -v10
	v_sub_f16_e32 v12, v17, v31
	v_sub_f16_e32 v31, v23, v120
	;; [unrolled: 1-line block ×4, first 2 shown]
	v_fma_f16 v32, v15, 2.0, -v8
	v_fma_f16 v15, v13, 2.0, -v11
	v_add_f16_e32 v13, v19, v22
	v_fma_f16 v22, v23, 2.0, -v31
	v_fma_f16 v23, v80, 2.0, -v33
	;; [unrolled: 1-line block ×3, first 2 shown]
	v_sub_f16_e32 v35, v79, v121
	v_sub_f16_e32 v119, v23, v42
	;; [unrolled: 1-line block ×4, first 2 shown]
	v_fma_f16 v41, v79, 2.0, -v35
	v_add_f16_e32 v121, v33, v35
	v_sub_f16_e32 v75, v106, v108
	v_fma_f16 v35, v24, 2.0, -v42
	v_sub_f16_e32 v80, v107, v109
	v_fma_f16 v24, v122, 2.0, -v76
	v_sub_f16_e32 v79, v22, v41
	v_sub_f16_e32 v120, v31, v36
	v_fma_f16 v41, v106, 2.0, -v75
	v_fma_f16 v36, v107, 2.0, -v80
	v_sub_f16_e32 v24, v35, v24
	v_sub_f16_e32 v122, v41, v36
	v_fma_f16 v36, v35, 2.0, -v24
	v_add_f16_e32 v35, v75, v76
	v_sub_f16_e32 v108, v110, v112
	v_sub_f16_e32 v109, v111, v113
	;; [unrolled: 1-line block ×3, first 2 shown]
	v_fma_f16 v80, v75, 2.0, -v35
	v_sub_f16_e32 v75, v77, v126
	v_fma_f16 v87, v110, 2.0, -v108
	v_sub_f16_e32 v105, v125, v127
	v_fma_f16 v81, v111, 2.0, -v109
	v_fma_f16 v76, v42, 2.0, -v123
	;; [unrolled: 1-line block ×4, first 2 shown]
	v_sub_f16_e32 v81, v87, v81
	v_sub_f16_e32 v42, v77, v42
	v_fma_f16 v107, v87, 2.0, -v81
	v_sub_f16_e32 v87, v75, v109
	v_sub_f16_e32 v16, v78, v16
	;; [unrolled: 1-line block ×3, first 2 shown]
	v_fma_f16 v106, v77, 2.0, -v42
	v_add_f16_e32 v105, v108, v105
	v_fma_f16 v109, v75, 2.0, -v87
	v_sub_f16_e32 v75, v114, v116
	v_fma_f16 v77, v78, 2.0, -v16
	v_sub_f16_e32 v112, v115, v117
	v_fma_f16 v7, v7, 2.0, -v18
	v_fma_f16 v111, v108, 2.0, -v105
	;; [unrolled: 1-line block ×3, first 2 shown]
	v_sub_f16_e32 v108, v77, v7
	v_sub_f16_e32 v112, v16, v112
	v_add_f16_e32 v113, v75, v18
	v_and_or_b32 v7, v50, s12, v5
	v_fma_f16 v78, v114, 2.0, -v75
	v_fma_f16 v116, v16, 2.0, -v112
	;; [unrolled: 1-line block ×3, first 2 shown]
	v_lshlrev_b32_e32 v75, 2, v7
	v_pack_b32_f16 v7, v20, v21
	v_pack_b32_f16 v16, v32, v34
	ds_write2st64_b32 v75, v7, v16 offset1:1
	v_pack_b32_f16 v6, v6, v118
	v_pack_b32_f16 v7, v8, v9
	ds_write2st64_b32 v75, v6, v7 offset0:2 offset1:3
	v_lshlrev_b32_e32 v6, 2, v39
	s_movk_i32 s12, 0xf00
	v_fma_f16 v17, v17, 2.0, -v12
	v_fma_f16 v19, v19, 2.0, -v13
	v_and_or_b32 v6, v6, s12, v5
	v_fma_f16 v114, v77, 2.0, -v108
	v_lshlrev_b32_e32 v77, 2, v6
	v_pack_b32_f16 v6, v14, v15
	v_pack_b32_f16 v7, v17, v19
	ds_write2st64_b32 v77, v6, v7 offset1:1
	v_pack_b32_f16 v6, v10, v11
	v_pack_b32_f16 v7, v12, v13
	s_movk_i32 s12, 0x1700
	v_fma_f16 v22, v22, 2.0, -v79
	v_fma_f16 v23, v23, 2.0, -v119
	;; [unrolled: 1-line block ×4, first 2 shown]
	v_sub_f16_e32 v110, v78, v110
	ds_write2st64_b32 v77, v6, v7 offset0:2 offset1:3
	v_and_or_b32 v6, v102, s12, v5
	v_fma_f16 v115, v78, 2.0, -v110
	v_lshlrev_b32_e32 v78, 2, v6
	v_pack_b32_f16 v6, v22, v23
	v_pack_b32_f16 v7, v31, v33
	ds_write2st64_b32 v78, v6, v7 offset1:1
	v_pack_b32_f16 v6, v79, v119
	v_pack_b32_f16 v7, v120, v121
	s_movk_i32 s12, 0x1f00
	v_fma_f16 v41, v41, 2.0, -v122
	ds_write2st64_b32 v78, v6, v7 offset0:2 offset1:3
	v_and_or_b32 v6, v83, s12, v5
	v_lshlrev_b32_e32 v79, 2, v6
	v_pack_b32_f16 v6, v36, v41
	v_pack_b32_f16 v7, v76, v80
	ds_write2st64_b32 v79, v6, v7 offset1:1
	v_pack_b32_f16 v6, v24, v122
	v_pack_b32_f16 v7, v123, v35
	s_movk_i32 s12, 0x2700
	ds_write2st64_b32 v79, v6, v7 offset0:2 offset1:3
	v_and_or_b32 v6, v82, s12, v5
	s_movk_i32 s12, 0x2f00
	v_and_b32_e32 v41, 0xff, v47
	v_lshlrev_b32_e32 v80, 2, v6
	v_pack_b32_f16 v6, v106, v107
	v_pack_b32_f16 v7, v109, v111
	v_and_or_b32 v5, v90, s12, v5
	v_mad_u64_u32 v[9:10], s[12:13], v41, 20, s[2:3]
	ds_write2st64_b32 v80, v6, v7 offset1:1
	v_pack_b32_f16 v6, v42, v81
	v_pack_b32_f16 v7, v87, v105
	ds_write2st64_b32 v80, v6, v7 offset0:2 offset1:3
	v_lshlrev_b32_e32 v81, 2, v5
	v_pack_b32_f16 v5, v114, v115
	v_pack_b32_f16 v6, v116, v117
	ds_write2st64_b32 v81, v5, v6 offset1:1
	v_pack_b32_f16 v5, v108, v110
	v_pack_b32_f16 v6, v112, v113
	ds_write2st64_b32 v81, v5, v6 offset0:2 offset1:3
	s_waitcnt lgkmcnt(0)
	s_barrier
	global_load_dwordx4 v[5:8], v[9:10], off offset:992
	global_load_dword v76, v[9:10], off offset:1008
	ds_read2st64_b32 v[11:12], v50 offset1:8
	ds_read2st64_b32 v[35:36], v50 offset0:32 offset1:40
	ds_read2st64_b32 v[33:34], v50 offset0:64 offset1:72
	;; [unrolled: 1-line block ×5, first 2 shown]
	s_waitcnt lgkmcnt(4)
	v_lshrrev_b32_e32 v87, 16, v35
	s_waitcnt lgkmcnt(3)
	v_lshrrev_b32_e32 v105, 16, v33
	;; [unrolled: 2-line block ×5, first 2 shown]
	v_lshrrev_b32_e32 v42, 16, v11
	s_movk_i32 s13, 0x3aee
	ds_read2st64_b32 v[9:10], v50 offset0:16 offset1:24
	ds_read2st64_b32 v[19:20], v50 offset0:48 offset1:56
	;; [unrolled: 1-line block ×6, first 2 shown]
	s_waitcnt vmcnt(0) lgkmcnt(0)
	s_barrier
	s_movk_i32 s12, 0x4000
	v_mul_f16_sdwa v109, v87, v5 dst_sel:DWORD dst_unused:UNUSED_PAD src0_sel:DWORD src1_sel:WORD_1
	v_fma_f16 v109, v35, v5, -v109
	v_mul_f16_sdwa v35, v35, v5 dst_sel:DWORD dst_unused:UNUSED_PAD src0_sel:DWORD src1_sel:WORD_1
	v_fma_f16 v87, v87, v5, v35
	v_mul_f16_sdwa v35, v105, v6 dst_sel:DWORD dst_unused:UNUSED_PAD src0_sel:DWORD src1_sel:WORD_1
	v_fma_f16 v110, v33, v6, -v35
	v_mul_f16_sdwa v33, v33, v6 dst_sel:DWORD dst_unused:UNUSED_PAD src0_sel:DWORD src1_sel:WORD_1
	v_fma_f16 v105, v105, v6, v33
	;; [unrolled: 4-line block ×4, first 2 shown]
	v_mul_f16_sdwa v23, v108, v76 dst_sel:DWORD dst_unused:UNUSED_PAD src0_sel:DWORD src1_sel:WORD_1
	v_fma_f16 v113, v21, v76, -v23
	v_mul_f16_sdwa v21, v21, v76 dst_sel:DWORD dst_unused:UNUSED_PAD src0_sel:DWORD src1_sel:WORD_1
	v_add_f16_e32 v23, v110, v31
	v_fma_f16 v114, v108, v76, v21
	v_add_f16_e32 v21, v11, v110
	v_fma_f16 v33, v23, -0.5, v11
	v_add_f16_e32 v11, v42, v105
	v_sub_f16_e32 v35, v105, v106
	v_add_f16_e32 v11, v11, v106
	v_add_f16_e32 v105, v105, v106
	v_sub_f16_e32 v106, v110, v31
	v_add_f16_e32 v107, v111, v113
	v_add_f16_e32 v110, v112, v114
	v_fma_f16 v105, v105, -0.5, v42
	v_add_f16_e32 v42, v109, v111
	v_fma_f16 v108, v107, -0.5, v109
	v_sub_f16_e32 v109, v112, v114
	v_add_f16_e32 v107, v87, v112
	v_fma_f16 v110, v110, -0.5, v87
	v_sub_f16_e32 v112, v111, v113
	v_fma_f16 v115, v109, s13, v108
	v_fma_f16 v87, v112, s14, v110
	v_add_f16_e32 v42, v42, v113
	v_mul_f16_e32 v111, 0x3aee, v87
	v_mul_f16_e32 v113, 0xbaee, v115
	v_add_f16_e32 v21, v21, v31
	v_fma_f16 v23, v35, s13, v33
	v_fma_f16 v31, v106, s14, v105
	v_fma_f16 v111, v115, 0.5, v111
	v_fma_f16 v113, v87, 0.5, v113
	v_add_f16_e32 v116, v23, v111
	v_add_f16_e32 v87, v31, v113
	v_pack_b32_f16 v115, v116, v87
	v_lshrrev_b32_e32 v87, 8, v47
	v_add_f16_e32 v107, v107, v114
	v_mul_u32_u24_e32 v87, 0x600, v87
	v_add_f16_e32 v114, v21, v42
	v_add_f16_e32 v117, v11, v107
	v_or_b32_e32 v87, v87, v41
	v_pack_b32_f16 v114, v114, v117
	v_lshlrev_b32_e32 v87, 2, v87
	ds_write2st64_b32 v87, v114, v115 offset1:4
	v_lshrrev_b32_e32 v114, 16, v36
	v_mul_f16_sdwa v115, v114, v5 dst_sel:DWORD dst_unused:UNUSED_PAD src0_sel:DWORD src1_sel:WORD_1
	v_fma_f16 v124, v36, v5, -v115
	v_mul_f16_sdwa v36, v36, v5 dst_sel:DWORD dst_unused:UNUSED_PAD src0_sel:DWORD src1_sel:WORD_1
	v_fma_f16 v36, v114, v5, v36
	v_lshrrev_b32_e32 v114, 16, v34
	v_mul_f16_sdwa v115, v114, v6 dst_sel:DWORD dst_unused:UNUSED_PAD src0_sel:DWORD src1_sel:WORD_1
	v_fma_f16 v125, v34, v6, -v115
	v_mul_f16_sdwa v34, v34, v6 dst_sel:DWORD dst_unused:UNUSED_PAD src0_sel:DWORD src1_sel:WORD_1
	v_fma_f16 v34, v114, v6, v34
	;; [unrolled: 5-line block ×5, first 2 shown]
	v_lshrrev_b32_e32 v114, 16, v19
	v_mul_f16_sdwa v115, v19, v5 dst_sel:DWORD dst_unused:UNUSED_PAD src0_sel:DWORD src1_sel:WORD_1
	v_fma_f16 v0, v114, v5, v115
	v_mul_f16_sdwa v114, v114, v5 dst_sel:DWORD dst_unused:UNUSED_PAD src0_sel:DWORD src1_sel:WORD_1
	v_fma_f16 v19, v19, v5, -v114
	v_lshrrev_b32_e32 v114, 16, v20
	v_mul_f16_sdwa v115, v114, v5 dst_sel:DWORD dst_unused:UNUSED_PAD src0_sel:DWORD src1_sel:WORD_1
	v_fma_f16 v115, v20, v5, -v115
	v_mul_f16_sdwa v20, v20, v5 dst_sel:DWORD dst_unused:UNUSED_PAD src0_sel:DWORD src1_sel:WORD_1
	v_fma_f16 v116, v114, v5, v20
	v_lshrrev_b32_e32 v20, 16, v17
	v_mul_f16_sdwa v114, v17, v6 dst_sel:DWORD dst_unused:UNUSED_PAD src0_sel:DWORD src1_sel:WORD_1
	v_fma_f16 v48, v20, v6, v114
	v_mul_f16_sdwa v20, v20, v6 dst_sel:DWORD dst_unused:UNUSED_PAD src0_sel:DWORD src1_sel:WORD_1
	v_fma_f16 v17, v17, v6, -v20
	v_lshrrev_b32_e32 v20, 16, v18
	v_mul_f16_sdwa v114, v20, v6 dst_sel:DWORD dst_unused:UNUSED_PAD src0_sel:DWORD src1_sel:WORD_1
	v_fma_f16 v119, v18, v6, -v114
	v_mul_f16_sdwa v18, v18, v6 dst_sel:DWORD dst_unused:UNUSED_PAD src0_sel:DWORD src1_sel:WORD_1
	v_fma_f16 v121, v20, v6, v18
	;; [unrolled: 10-line block ×5, first 2 shown]
	v_fma_f16 v14, v35, s14, v33
	v_fma_f16 v33, v109, s14, v108
	;; [unrolled: 1-line block ×4, first 2 shown]
	v_mul_f16_e32 v105, -0.5, v33
	v_fma_f16 v106, v35, s13, v105
	v_mul_f16_e32 v35, -0.5, v35
	v_fma_f16 v33, v33, s14, v35
	v_sub_f16_e32 v35, v21, v42
	v_sub_f16_e32 v42, v11, v107
	v_add_f16_e32 v11, v125, v127
	v_sub_f16_e32 v105, v23, v111
	v_add_f16_e32 v23, v14, v106
	v_sub_f16_e32 v106, v14, v106
	v_sub_f16_e32 v114, v31, v113
	v_add_f16_e32 v31, v16, v33
	v_sub_f16_e32 v122, v16, v33
	v_fma_f16 v11, v11, -0.5, v12
	v_lshrrev_b32_e32 v14, 16, v12
	v_sub_f16_e32 v16, v34, v24
	v_fma_f16 v21, v16, s13, v11
	v_fma_f16 v16, v16, s14, v11
	v_add_f16_e32 v11, v14, v34
	v_add_f16_e32 v33, v11, v24
	v_add_f16_e32 v11, v34, v24
	v_fma_f16 v11, v11, -0.5, v14
	v_sub_f16_e32 v14, v125, v127
	v_fma_f16 v24, v14, s14, v11
	v_fma_f16 v34, v14, s13, v11
	v_add_f16_e32 v11, v126, v118
	v_fma_f16 v11, v11, -0.5, v124
	v_sub_f16_e32 v14, v32, v22
	v_fma_f16 v107, v14, s13, v11
	v_fma_f16 v11, v14, s14, v11
	v_add_f16_e32 v14, v36, v32
	v_add_f16_e32 v108, v14, v22
	;; [unrolled: 1-line block ×3, first 2 shown]
	v_fma_f16 v14, v14, -0.5, v36
	v_sub_f16_e32 v32, v126, v118
	v_fma_f16 v36, v32, s14, v14
	v_fma_f16 v14, v32, s13, v14
	v_mul_f16_e32 v32, 0x3aee, v36
	v_fma_f16 v32, v107, 0.5, v32
	v_mul_f16_e32 v107, 0xbaee, v107
	v_add_f16_e32 v12, v12, v125
	v_add_f16_e32 v22, v124, v126
	v_fma_f16 v36, v36, 0.5, v107
	v_mul_f16_e32 v107, -0.5, v11
	v_add_f16_e32 v12, v12, v127
	v_add_f16_e32 v22, v22, v118
	v_fma_f16 v107, v14, s13, v107
	v_mul_f16_e32 v14, -0.5, v14
	v_fma_f16 v109, v11, s14, v14
	v_add_f16_e32 v126, v12, v22
	v_sub_f16_e32 v11, v12, v22
	v_add_f16_e32 v14, v16, v107
	v_sub_f16_e32 v127, v16, v107
	;; [unrolled: 2-line block ×3, first 2 shown]
	v_pack_b32_f16 v23, v23, v31
	v_pack_b32_f16 v24, v35, v42
	v_add_f16_e32 v31, v17, v13
	v_fma_f16 v31, v31, -0.5, v9
	ds_write2st64_b32 v87, v23, v24 offset0:8 offset1:12
	v_sub_f16_e32 v23, v48, v18
	v_add_f16_e32 v124, v34, v109
	v_sub_f16_e32 v123, v34, v109
	v_fma_f16 v24, v23, s13, v31
	v_fma_f16 v34, v23, s14, v31
	v_lshrrev_b32_e32 v23, 16, v9
	v_add_f16_e32 v31, v23, v48
	v_add_f16_e32 v35, v31, v18
	;; [unrolled: 1-line block ×4, first 2 shown]
	v_fma_f16 v18, v18, -0.5, v23
	v_add_f16_e32 v9, v9, v13
	v_sub_f16_e32 v13, v17, v13
	v_fma_f16 v17, v13, s14, v18
	v_fma_f16 v13, v13, s13, v18
	v_add_f16_e32 v18, v15, v43
	v_fma_f16 v18, v18, -0.5, v19
	v_sub_f16_e32 v23, v20, v40
	v_fma_f16 v31, v23, s13, v18
	v_fma_f16 v18, v23, s14, v18
	v_add_f16_e32 v23, v0, v20
	v_add_f16_e32 v20, v20, v40
	v_fma_f16 v0, v20, -0.5, v0
	v_add_f16_e32 v19, v19, v15
	v_sub_f16_e32 v15, v15, v43
	v_add_f16_e32 v36, v23, v40
	v_fma_f16 v20, v15, s14, v0
	v_mul_f16_e32 v23, 0xbaee, v31
	v_fma_f16 v0, v15, s13, v0
	v_mul_f16_e32 v15, 0x3aee, v20
	v_fma_f16 v20, v20, 0.5, v23
	v_mul_f16_e32 v23, -0.5, v18
	v_fma_f16 v40, v0, s13, v23
	v_mul_f16_e32 v0, -0.5, v0
	v_fma_f16 v15, v31, 0.5, v15
	v_fma_f16 v0, v18, s14, v0
	v_add_f16_e32 v118, v21, v32
	v_sub_f16_e32 v12, v21, v32
	v_add_f16_e32 v21, v33, v108
	v_sub_f16_e32 v125, v33, v108
	;; [unrolled: 2-line block ×6, first 2 shown]
	v_add_f16_e32 v0, v119, v104
	v_fma_f16 v0, v0, -0.5, v10
	v_lshrrev_b32_e32 v13, 16, v10
	v_sub_f16_e32 v15, v121, v103
	v_add_f16_e32 v18, v121, v103
	v_add_f16_e32 v19, v19, v43
	;; [unrolled: 1-line block ×3, first 2 shown]
	v_sub_f16_e32 v35, v17, v20
	v_fma_f16 v17, v15, s13, v0
	v_fma_f16 v0, v15, s14, v0
	v_add_f16_e32 v15, v13, v121
	v_fma_f16 v13, v18, -0.5, v13
	v_sub_f16_e32 v18, v119, v104
	v_add_f16_e32 v31, v9, v19
	v_sub_f16_e32 v9, v9, v19
	v_fma_f16 v19, v18, s14, v13
	v_fma_f16 v13, v18, s13, v13
	v_add_f16_e32 v18, v117, v44
	v_fma_f16 v18, v18, -0.5, v115
	v_sub_f16_e32 v20, v120, v45
	v_fma_f16 v40, v20, s13, v18
	v_fma_f16 v18, v20, s14, v18
	v_add_f16_e32 v20, v116, v120
	v_add_f16_e32 v20, v20, v45
	;; [unrolled: 1-line block ×4, first 2 shown]
	v_fma_f16 v43, v43, -0.5, v116
	v_add_f16_e32 v45, v45, v44
	v_sub_f16_e32 v44, v117, v44
	v_fma_f16 v48, v44, s14, v43
	v_fma_f16 v43, v44, s13, v43
	v_mul_f16_e32 v44, 0x3aee, v48
	v_fma_f16 v44, v40, 0.5, v44
	v_mul_f16_e32 v40, 0xbaee, v40
	v_fma_f16 v40, v48, 0.5, v40
	v_mul_f16_e32 v48, -0.5, v18
	v_fma_f16 v48, v43, s13, v48
	v_mul_f16_e32 v43, -0.5, v43
	v_fma_f16 v18, v18, s14, v43
	v_add_f16_e32 v113, v0, v48
	v_sub_f16_e32 v110, v0, v48
	v_add_f16_e32 v121, v13, v18
	v_sub_f16_e32 v117, v13, v18
	v_pack_b32_f16 v0, v105, v114
	v_pack_b32_f16 v13, v106, v122
	ds_write2st64_b32 v87, v0, v13 offset0:16 offset1:20
	v_lshrrev_b32_e32 v0, 8, v39
	v_mul_u32_u24_e32 v0, 0x600, v0
	v_or_b32_e32 v0, v0, v41
	v_lshlrev_b32_e32 v105, 2, v0
	v_pack_b32_f16 v0, v126, v21
	v_pack_b32_f16 v13, v118, v22
	ds_write2st64_b32 v105, v0, v13 offset1:4
	v_pack_b32_f16 v0, v14, v124
	v_pack_b32_f16 v11, v11, v125
	ds_write2st64_b32 v105, v0, v11 offset0:8 offset1:12
	v_pack_b32_f16 v0, v12, v16
	v_pack_b32_f16 v11, v127, v123
	ds_write2st64_b32 v105, v0, v11 offset0:16 offset1:20
	v_lshrrev_b32_e32 v0, 8, v38
	v_mul_u32_u24_e32 v0, 0x600, v0
	v_or_b32_e32 v0, v0, v41
	v_lshlrev_b32_e32 v106, 2, v0
	v_pack_b32_f16 v0, v31, v42
	v_pack_b32_f16 v11, v32, v107
	ds_write2st64_b32 v106, v0, v11 offset1:4
	v_pack_b32_f16 v0, v33, v108
	v_pack_b32_f16 v9, v9, v34
	ds_write2st64_b32 v106, v0, v9 offset0:8 offset1:12
	v_pack_b32_f16 v0, v23, v35
	v_pack_b32_f16 v9, v24, v36
	v_add_f16_e32 v10, v10, v119
	v_add_f16_e32 v120, v19, v40
	v_sub_f16_e32 v116, v19, v40
	ds_write2st64_b32 v106, v0, v9 offset0:16 offset1:20
	v_lshrrev_b32_e32 v0, 8, v37
	v_mad_u64_u32 v[18:19], s[2:3], v47, 28, s[2:3]
	v_add_f16_e32 v15, v15, v103
	v_add_f16_e32 v10, v10, v104
	v_mul_u32_u24_e32 v0, 0x600, v0
	v_add_f16_e32 v111, v10, v45
	v_add_f16_e32 v112, v17, v44
	v_add_f16_e32 v119, v15, v20
	v_or_b32_e32 v0, v0, v41
	v_sub_f16_e32 v10, v10, v45
	v_sub_f16_e32 v115, v15, v20
	v_lshlrev_b32_e32 v107, 2, v0
	v_pack_b32_f16 v0, v111, v119
	v_pack_b32_f16 v9, v112, v120
	s_movk_i32 s2, 0x1000
	v_sub_f16_e32 v109, v17, v44
	ds_write2st64_b32 v107, v0, v9 offset1:4
	v_pack_b32_f16 v0, v113, v121
	v_pack_b32_f16 v9, v10, v115
	v_add_co_u32_e32 v20, vcc, s2, v18
	ds_write2st64_b32 v107, v0, v9 offset0:8 offset1:12
	v_pack_b32_f16 v0, v109, v116
	v_pack_b32_f16 v9, v110, v117
	v_addc_co_u32_e32 v21, vcc, 0, v19, vcc
	ds_write2st64_b32 v107, v0, v9 offset0:16 offset1:20
	s_waitcnt lgkmcnt(0)
	s_barrier
	global_load_dwordx4 v[9:12], v[20:21], off offset:2016
	v_add_co_u32_e32 v22, vcc, s12, v18
	v_addc_co_u32_e32 v23, vcc, 0, v19, vcc
	global_load_dwordx4 v[13:16], v[22:23], off offset:4064
	global_load_dwordx3 v[34:36], v[20:21], off offset:2032
	global_load_dwordx3 v[31:33], v[22:23], off offset:4080
	ds_read2st64_b32 v[110:111], v50 offset1:8
	ds_read2st64_b32 v[21:22], v50 offset0:16 offset1:24
	ds_read2st64_b32 v[108:109], v50 offset0:48 offset1:56
	;; [unrolled: 1-line block ×4, first 2 shown]
	s_mov_b32 s12, 0x8000
	ds_read2st64_b32 v[114:115], v50 offset0:144 offset1:152
	s_waitcnt lgkmcnt(3)
	v_lshrrev_b32_e32 v20, 16, v108
	v_add_co_u32_e32 v41, vcc, s12, v18
	s_waitcnt lgkmcnt(1)
	v_lshrrev_b32_e32 v39, 16, v112
	v_lshrrev_b32_e32 v48, 16, v113
	ds_read2st64_b32 v[37:38], v50 offset0:112 offset1:120
	v_lshrrev_b32_e32 v45, 16, v109
	v_addc_co_u32_e32 v42, vcc, 0, v19, vcc
	s_waitcnt lgkmcnt(1)
	v_lshrrev_b32_e32 v44, 16, v114
	v_lshrrev_b32_e32 v40, 16, v22
	;; [unrolled: 1-line block ×6, first 2 shown]
	s_mov_b32 s2, 0x55555555
	s_mov_b32 s3, 0x3f155555
	s_waitcnt vmcnt(3)
	v_mul_f16_sdwa v18, v20, v10 dst_sel:DWORD dst_unused:UNUSED_PAD src0_sel:DWORD src1_sel:WORD_1
	v_fma_f16 v104, v108, v10, -v18
	v_mul_f16_sdwa v18, v108, v10 dst_sel:DWORD dst_unused:UNUSED_PAD src0_sel:DWORD src1_sel:WORD_1
	v_fma_f16 v116, v20, v10, v18
	v_mul_f16_sdwa v20, v112, v12 dst_sel:DWORD dst_unused:UNUSED_PAD src0_sel:DWORD src1_sel:WORD_1
	v_fma_f16 v117, v39, v12, v20
	v_mul_f16_sdwa v20, v39, v12 dst_sel:DWORD dst_unused:UNUSED_PAD src0_sel:DWORD src1_sel:WORD_1
	s_waitcnt vmcnt(2)
	v_mul_f16_sdwa v19, v109, v14 dst_sel:DWORD dst_unused:UNUSED_PAD src0_sel:DWORD src1_sel:WORD_1
	v_fma_f16 v108, v112, v12, -v20
	v_mul_f16_sdwa v20, v48, v16 dst_sel:DWORD dst_unused:UNUSED_PAD src0_sel:DWORD src1_sel:WORD_1
	v_mul_f16_sdwa v18, v45, v14 dst_sel:DWORD dst_unused:UNUSED_PAD src0_sel:DWORD src1_sel:WORD_1
	v_fma_f16 v19, v45, v14, v19
	v_fma_f16 v45, v113, v16, -v20
	v_mul_f16_sdwa v20, v113, v16 dst_sel:DWORD dst_unused:UNUSED_PAD src0_sel:DWORD src1_sel:WORD_1
	s_waitcnt vmcnt(1)
	v_mul_f16_sdwa v39, v114, v35 dst_sel:DWORD dst_unused:UNUSED_PAD src0_sel:DWORD src1_sel:WORD_1
	v_fma_f16 v18, v109, v14, -v18
	v_fma_f16 v112, v44, v35, v39
	v_mul_f16_sdwa v39, v44, v35 dst_sel:DWORD dst_unused:UNUSED_PAD src0_sel:DWORD src1_sel:WORD_1
	v_fma_f16 v20, v48, v16, v20
	s_waitcnt vmcnt(0)
	v_mul_f16_sdwa v48, v115, v32 dst_sel:DWORD dst_unused:UNUSED_PAD src0_sel:DWORD src1_sel:WORD_1
	v_mul_f16_sdwa v109, v22, v9 dst_sel:DWORD dst_unused:UNUSED_PAD src0_sel:DWORD src1_sel:WORD_1
	v_fma_f16 v44, v114, v35, -v39
	v_mul_f16_sdwa v39, v103, v32 dst_sel:DWORD dst_unused:UNUSED_PAD src0_sel:DWORD src1_sel:WORD_1
	v_fma_f16 v113, v40, v9, v109
	v_fma_f16 v109, v103, v32, v48
	v_mul_f16_sdwa v103, v24, v11 dst_sel:DWORD dst_unused:UNUSED_PAD src0_sel:DWORD src1_sel:WORD_1
	v_mul_f16_sdwa v40, v40, v9 dst_sel:DWORD dst_unused:UNUSED_PAD src0_sel:DWORD src1_sel:WORD_1
	v_sub_f16_e32 v108, v110, v108
	v_fma_f16 v103, v43, v11, v103
	v_mul_f16_sdwa v43, v43, v11 dst_sel:DWORD dst_unused:UNUSED_PAD src0_sel:DWORD src1_sel:WORD_1
	v_fma_f16 v40, v22, v9, -v40
	v_fma_f16 v48, v110, 2.0, -v108
	v_sub_f16_e32 v22, v111, v45
	v_fma_f16 v24, v24, v11, -v43
	s_waitcnt lgkmcnt(0)
	v_lshrrev_b32_e32 v43, 16, v38
	v_mul_f16_sdwa v110, v38, v34 dst_sel:DWORD dst_unused:UNUSED_PAD src0_sel:DWORD src1_sel:WORD_1
	v_fma_f16 v45, v111, 2.0, -v22
	v_fma_f16 v114, v43, v34, v110
	ds_read2st64_b32 v[110:111], v50 offset0:160 offset1:168
	v_mul_f16_sdwa v43, v43, v34 dst_sel:DWORD dst_unused:UNUSED_PAD src0_sel:DWORD src1_sel:WORD_1
	v_fma_f16 v39, v115, v32, -v39
	v_fma_f16 v38, v38, v34, -v43
	v_sub_f16_e32 v119, v0, v117
	s_waitcnt lgkmcnt(0)
	v_lshrrev_b32_e32 v43, 16, v111
	v_mul_f16_sdwa v115, v111, v36 dst_sel:DWORD dst_unused:UNUSED_PAD src0_sel:DWORD src1_sel:WORD_1
	v_fma_f16 v115, v43, v36, v115
	v_mul_f16_sdwa v43, v43, v36 dst_sel:DWORD dst_unused:UNUSED_PAD src0_sel:DWORD src1_sel:WORD_1
	v_fma_f16 v43, v111, v36, -v43
	v_sub_f16_e32 v120, v116, v112
	v_fma_f16 v0, v0, 2.0, -v119
	v_sub_f16_e32 v44, v104, v44
	v_fma_f16 v111, v116, 2.0, -v120
	v_sub_f16_e32 v121, v40, v38
	v_sub_f16_e32 v122, v113, v114
	;; [unrolled: 1-line block ×4, first 2 shown]
	v_fma_f16 v104, v104, 2.0, -v44
	v_fma_f16 v38, v40, 2.0, -v121
	;; [unrolled: 1-line block ×5, first 2 shown]
	v_sub_f16_e32 v124, v0, v111
	ds_read2st64_b32 v[111:112], v50 offset0:32 offset1:40
	v_sub_f16_e32 v104, v48, v104
	v_sub_f16_e32 v24, v38, v24
	;; [unrolled: 1-line block ×3, first 2 shown]
	v_fma_f16 v48, v48, 2.0, -v104
	v_fma_f16 v0, v0, 2.0, -v124
	;; [unrolled: 1-line block ×4, first 2 shown]
	v_sub_f16_e32 v38, v48, v38
	v_sub_f16_e32 v40, v0, v40
	v_fma_f16 v48, v48, 2.0, -v38
	v_fma_f16 v0, v0, 2.0, -v40
	v_pack_b32_f16 v0, v48, v0
	s_waitcnt lgkmcnt(0)
	v_lshrrev_b32_e32 v48, 16, v111
	v_mul_f16_sdwa v113, v111, v13 dst_sel:DWORD dst_unused:UNUSED_PAD src0_sel:DWORD src1_sel:WORD_1
	v_fma_f16 v125, v48, v13, v113
	ds_read2st64_b32 v[113:114], v50 offset0:80 offset1:88
	v_mul_f16_sdwa v48, v48, v13 dst_sel:DWORD dst_unused:UNUSED_PAD src0_sel:DWORD src1_sel:WORD_1
	v_fma_f16 v48, v111, v13, -v48
	v_sub_f16_e32 v46, v18, v39
	v_sub_f16_e32 v109, v19, v109
	s_waitcnt lgkmcnt(0)
	v_lshrrev_b32_e32 v111, 16, v113
	v_mul_f16_sdwa v115, v113, v15 dst_sel:DWORD dst_unused:UNUSED_PAD src0_sel:DWORD src1_sel:WORD_1
	v_fma_f16 v126, v111, v15, v115
	ds_read2st64_b32 v[115:116], v50 offset0:128 offset1:136
	v_mul_f16_sdwa v111, v111, v15 dst_sel:DWORD dst_unused:UNUSED_PAD src0_sel:DWORD src1_sel:WORD_1
	v_fma_f16 v111, v113, v15, -v111
	v_fma_f16 v18, v18, 2.0, -v46
	v_fma_f16 v19, v19, 2.0, -v109
	s_waitcnt lgkmcnt(0)
	v_lshrrev_b32_e32 v113, 16, v115
	v_mul_f16_sdwa v117, v115, v31 dst_sel:DWORD dst_unused:UNUSED_PAD src0_sel:DWORD src1_sel:WORD_1
	v_fma_f16 v127, v113, v31, v117
	ds_read2st64_b32 v[117:118], v50 offset0:176 offset1:184
	v_mul_f16_sdwa v113, v113, v31 dst_sel:DWORD dst_unused:UNUSED_PAD src0_sel:DWORD src1_sel:WORD_1
	v_fma_f16 v113, v115, v31, -v113
	v_sub_f16_e32 v113, v48, v113
	v_sub_f16_e32 v127, v125, v127
	s_waitcnt lgkmcnt(0)
	v_lshrrev_b32_e32 v115, 16, v117
	v_mul_f16_sdwa v70, v117, v33 dst_sel:DWORD dst_unused:UNUSED_PAD src0_sel:DWORD src1_sel:WORD_1
	v_fma_f16 v70, v115, v33, v70
	v_mul_f16_sdwa v115, v115, v33 dst_sel:DWORD dst_unused:UNUSED_PAD src0_sel:DWORD src1_sel:WORD_1
	v_fma_f16 v115, v117, v33, -v115
	v_sub_f16_e32 v117, v17, v20
	v_fma_f16 v20, v48, 2.0, -v113
	v_sub_f16_e32 v48, v111, v115
	v_sub_f16_e32 v70, v126, v70
	v_fma_f16 v17, v17, 2.0, -v117
	v_fma_f16 v39, v125, 2.0, -v127
	;; [unrolled: 1-line block ×4, first 2 shown]
	v_sub_f16_e32 v18, v45, v18
	v_sub_f16_e32 v19, v17, v19
	;; [unrolled: 1-line block ×4, first 2 shown]
	v_fma_f16 v45, v45, 2.0, -v18
	v_fma_f16 v17, v17, 2.0, -v19
	v_fma_f16 v20, v20, 2.0, -v111
	v_fma_f16 v39, v39, 2.0, -v115
	v_sub_f16_e32 v20, v45, v20
	v_sub_f16_e32 v39, v17, v39
	v_fma_f16 v45, v45, 2.0, -v20
	v_fma_f16 v17, v17, 2.0, -v39
	v_pack_b32_f16 v17, v45, v17
	ds_write2st64_b32 v50, v0, v17 offset1:8
	v_sub_f16_e32 v0, v104, v103
	v_add_f16_e32 v17, v124, v24
	v_fma_f16 v24, v104, 2.0, -v0
	v_fma_f16 v45, v124, 2.0, -v17
	v_pack_b32_f16 v24, v24, v45
	v_sub_f16_e32 v45, v18, v115
	v_add_f16_e32 v103, v19, v111
	v_fma_f16 v18, v18, 2.0, -v45
	v_fma_f16 v19, v19, 2.0, -v103
	v_pack_b32_f16 v18, v18, v19
	ds_write2st64_b32 v50, v24, v18 offset0:48 offset1:56
	v_pack_b32_f16 v18, v38, v40
	v_pack_b32_f16 v19, v20, v39
	;; [unrolled: 1-line block ×4, first 2 shown]
	ds_write2st64_b32 v50, v18, v19 offset0:96 offset1:104
	ds_write2st64_b32 v50, v0, v17 offset0:144 offset1:152
	global_load_dwordx4 v[17:20], v[41:42], off offset:2016
	v_lshrrev_b32_e32 v0, 16, v112
	v_add_f16_e32 v44, v119, v44
	v_add_f16_e32 v43, v122, v43
	v_sub_f16_e32 v70, v113, v70
	v_add_f16_e32 v46, v117, v46
	v_add_f16_e32 v48, v127, v48
	v_fma_f16 v113, v113, 2.0, -v70
	s_waitcnt vmcnt(0)
	v_mul_f16_sdwa v38, v112, v17 dst_sel:DWORD dst_unused:UNUSED_PAD src0_sel:DWORD src1_sel:WORD_1
	v_mul_f16_sdwa v24, v0, v17 dst_sel:DWORD dst_unused:UNUSED_PAD src0_sel:DWORD src1_sel:WORD_1
	v_fma_f16 v0, v0, v17, v38
	v_lshrrev_b32_e32 v38, 16, v23
	v_mul_f16_sdwa v39, v38, v18 dst_sel:DWORD dst_unused:UNUSED_PAD src0_sel:DWORD src1_sel:WORD_1
	v_fma_f16 v40, v23, v18, -v39
	v_mul_f16_sdwa v23, v23, v18 dst_sel:DWORD dst_unused:UNUSED_PAD src0_sel:DWORD src1_sel:WORD_1
	v_fma_f16 v23, v38, v18, v23
	v_lshrrev_b32_e32 v38, 16, v114
	v_mul_f16_sdwa v39, v38, v19 dst_sel:DWORD dst_unused:UNUSED_PAD src0_sel:DWORD src1_sel:WORD_1
	v_fma_f16 v45, v114, v19, -v39
	v_mul_f16_sdwa v39, v114, v19 dst_sel:DWORD dst_unused:UNUSED_PAD src0_sel:DWORD src1_sel:WORD_1
	v_fma_f16 v103, v38, v19, v39
	v_lshrrev_b32_e32 v38, 16, v37
	v_mul_f16_sdwa v39, v38, v20 dst_sel:DWORD dst_unused:UNUSED_PAD src0_sel:DWORD src1_sel:WORD_1
	v_fma_f16 v104, v37, v20, -v39
	v_mul_f16_sdwa v37, v37, v20 dst_sel:DWORD dst_unused:UNUSED_PAD src0_sel:DWORD src1_sel:WORD_1
	v_fma_f16 v111, v38, v20, v37
	global_load_dwordx3 v[37:39], v[41:42], off offset:2032
	v_fma_f16 v24, v112, v17, -v24
	v_lshrrev_b32_e32 v41, 16, v116
	v_sub_f16_e32 v104, v21, v104
	s_waitcnt vmcnt(0)
	v_mul_f16_sdwa v112, v116, v37 dst_sel:DWORD dst_unused:UNUSED_PAD src0_sel:DWORD src1_sel:WORD_1
	v_mul_f16_sdwa v42, v41, v37 dst_sel:DWORD dst_unused:UNUSED_PAD src0_sel:DWORD src1_sel:WORD_1
	v_fma_f16 v41, v41, v37, v112
	v_lshrrev_b32_e32 v112, 16, v110
	v_mul_f16_sdwa v114, v112, v38 dst_sel:DWORD dst_unused:UNUSED_PAD src0_sel:DWORD src1_sel:WORD_1
	v_fma_f16 v114, v110, v38, -v114
	v_mul_f16_sdwa v110, v110, v38 dst_sel:DWORD dst_unused:UNUSED_PAD src0_sel:DWORD src1_sel:WORD_1
	v_fma_f16 v110, v112, v38, v110
	v_lshrrev_b32_e32 v112, 16, v118
	v_fma_f16 v42, v116, v37, -v42
	v_mul_f16_sdwa v115, v112, v39 dst_sel:DWORD dst_unused:UNUSED_PAD src0_sel:DWORD src1_sel:WORD_1
	v_mul_f16_sdwa v116, v118, v39 dst_sel:DWORD dst_unused:UNUSED_PAD src0_sel:DWORD src1_sel:WORD_1
	v_fma_f16 v115, v118, v39, -v115
	v_fma_f16 v112, v112, v39, v116
	v_sub_f16_e32 v116, v108, v120
	v_fma_f16 v118, v119, 2.0, -v44
	v_sub_f16_e32 v119, v121, v123
	v_fma_f16 v108, v108, 2.0, -v116
	v_fma_f16 v120, v121, 2.0, -v119
	;; [unrolled: 1-line block ×3, first 2 shown]
	v_fma_f16 v122, v120, s0, v108
	v_fma_f16 v122, v121, s0, v122
	;; [unrolled: 1-line block ×4, first 2 shown]
	v_lshrrev_b32_e32 v121, 16, v21
	v_fma_f16 v108, v108, 2.0, -v122
	v_fma_f16 v118, v118, 2.0, -v120
	v_sub_f16_e32 v111, v121, v111
	v_sub_f16_e32 v114, v40, v114
	;; [unrolled: 1-line block ×7, first 2 shown]
	v_fma_f16 v21, v21, 2.0, -v104
	v_pack_b32_f16 v108, v108, v118
	v_fma_f16 v118, v121, 2.0, -v111
	v_fma_f16 v40, v40, 2.0, -v114
	;; [unrolled: 1-line block ×7, first 2 shown]
	v_sub_f16_e32 v40, v21, v40
	v_sub_f16_e32 v23, v118, v23
	;; [unrolled: 1-line block ×4, first 2 shown]
	v_fma_f16 v21, v21, 2.0, -v40
	v_fma_f16 v118, v118, 2.0, -v23
	;; [unrolled: 1-line block ×4, first 2 shown]
	v_sub_f16_e32 v24, v21, v24
	v_sub_f16_e32 v0, v118, v0
	v_fma_f16 v21, v21, 2.0, -v24
	v_fma_f16 v118, v118, 2.0, -v0
	v_pack_b32_f16 v21, v21, v118
	ds_write2st64_b32 v50, v21, v108 offset0:16 offset1:24
	v_sub_f16_e32 v108, v22, v109
	v_fma_f16 v22, v22, 2.0, -v108
	v_fma_f16 v109, v117, 2.0, -v46
	;; [unrolled: 1-line block ×3, first 2 shown]
	v_fma_f16 v118, v113, s0, v22
	v_fma_f16 v118, v117, s0, v118
	;; [unrolled: 1-line block ×8, first 2 shown]
	v_sub_f16_e32 v70, v104, v110
	v_sub_f16_e32 v112, v42, v112
	v_add_f16_e32 v110, v111, v114
	v_fma_f16 v104, v104, 2.0, -v70
	v_add_f16_e32 v114, v41, v115
	v_fma_f16 v42, v42, 2.0, -v112
	v_fma_f16 v111, v111, 2.0, -v110
	v_fma_f16 v41, v41, 2.0, -v114
	v_fma_f16 v115, v42, s0, v104
	v_fma_f16 v21, v119, s1, v116
	;; [unrolled: 1-line block ×12, first 2 shown]
	v_fma_f16 v114, v116, 2.0, -v21
	v_fma_f16 v44, v44, 2.0, -v43
	v_pack_b32_f16 v21, v21, v43
	v_fma_f16 v22, v22, 2.0, -v118
	v_fma_f16 v43, v109, 2.0, -v113
	v_pack_b32_f16 v44, v114, v44
	v_pack_b32_f16 v114, v122, v120
	;; [unrolled: 1-line block ×3, first 2 shown]
	v_fma_f16 v43, v108, 2.0, -v117
	v_fma_f16 v46, v46, 2.0, -v48
	;; [unrolled: 1-line block ×4, first 2 shown]
	v_sub_f16_e32 v103, v40, v103
	v_add_f16_e32 v45, v23, v45
	v_pack_b32_f16 v0, v24, v0
	v_pack_b32_f16 v43, v43, v46
	;; [unrolled: 1-line block ×3, first 2 shown]
	v_fma_f16 v40, v40, 2.0, -v103
	v_fma_f16 v23, v23, 2.0, -v45
	v_pack_b32_f16 v104, v104, v108
	ds_write2st64_b32 v50, v0, v114 offset0:112 offset1:120
	v_pack_b32_f16 v0, v115, v41
	v_fma_f16 v70, v70, 2.0, -v42
	v_fma_f16 v109, v110, 2.0, -v112
	ds_write2st64_b32 v50, v22, v104 offset0:32 offset1:40
	v_pack_b32_f16 v22, v40, v23
	ds_write2st64_b32 v50, v46, v0 offset0:128 offset1:136
	v_pack_b32_f16 v0, v103, v45
	v_pack_b32_f16 v48, v117, v48
	ds_write2st64_b32 v50, v22, v44 offset0:64 offset1:72
	v_pack_b32_f16 v22, v70, v109
	ds_write2st64_b32 v50, v0, v21 offset0:160 offset1:168
	;; [unrolled: 2-line block ×3, first 2 shown]
	ds_write2st64_b32 v50, v48, v0 offset0:176 offset1:184
	s_waitcnt lgkmcnt(0)
	s_barrier
	global_load_dword v0, v50, s[6:7]
	global_load_dword v23, v83, s[6:7]
	v_or_b32_e32 v21, 0x3000, v50
	global_load_dword v24, v21, s[6:7]
	global_load_dword v40, v84, s[6:7]
	;; [unrolled: 1-line block ×6, first 2 shown]
	global_load_dword v45, v50, s[6:7] offset:2048
	global_load_dword v46, v82, s[6:7]
	global_load_dword v103, v91, s[6:7]
	;; [unrolled: 1-line block ×3, first 2 shown]
	ds_read2st64_b32 v[108:109], v50 offset1:8
	ds_read2st64_b32 v[21:22], v50 offset0:16 offset1:24
	global_load_dword v86, v99, s[6:7]
	global_load_dword v84, v100, s[6:7]
	;; [unrolled: 1-line block ×3, first 2 shown]
	s_waitcnt lgkmcnt(1)
	v_lshrrev_b32_e32 v48, 16, v108
	global_load_dword v90, v90, s[6:7]
	ds_read2st64_b32 v[91:92], v50 offset0:48 offset1:56
	global_load_dword v100, v97, s[6:7]
	ds_read2st64_b32 v[110:111], v50 offset0:96 offset1:104
	ds_read2st64_b32 v[98:99], v50 offset0:144 offset1:152
	s_waitcnt vmcnt(14) lgkmcnt(2)
	v_mul_f16_sdwa v83, v91, v24 dst_sel:DWORD dst_unused:UNUSED_PAD src0_sel:DWORD src1_sel:WORD_1
	s_waitcnt vmcnt(12) lgkmcnt(1)
	v_mul_f16_sdwa v88, v110, v41 dst_sel:DWORD dst_unused:UNUSED_PAD src0_sel:DWORD src1_sel:WORD_1
	v_mul_f16_sdwa v70, v48, v0 dst_sel:DWORD dst_unused:UNUSED_PAD src0_sel:DWORD src1_sel:WORD_1
	;; [unrolled: 1-line block ×3, first 2 shown]
	v_fma_f16 v70, v108, v0, -v70
	v_fma_f16 v0, v48, v0, v82
	v_lshrrev_b32_e32 v48, 16, v22
	v_pack_b32_f16 v0, v70, v0
	v_mul_f16_sdwa v70, v48, v23 dst_sel:DWORD dst_unused:UNUSED_PAD src0_sel:DWORD src1_sel:WORD_1
	v_fma_f16 v70, v22, v23, -v70
	v_mul_f16_sdwa v22, v22, v23 dst_sel:DWORD dst_unused:UNUSED_PAD src0_sel:DWORD src1_sel:WORD_1
	v_fma_f16 v22, v48, v23, v22
	v_pack_b32_f16 v82, v70, v22
	ds_read2st64_b32 v[22:23], v50 offset0:64 offset1:72
	v_lshrrev_b32_e32 v48, 16, v91
	v_mul_f16_sdwa v70, v48, v24 dst_sel:DWORD dst_unused:UNUSED_PAD src0_sel:DWORD src1_sel:WORD_1
	v_fma_f16 v70, v91, v24, -v70
	v_fma_f16 v24, v48, v24, v83
	v_pack_b32_f16 v48, v70, v24
	s_waitcnt lgkmcnt(0)
	v_lshrrev_b32_e32 v24, 16, v23
	v_mul_f16_sdwa v70, v24, v40 dst_sel:DWORD dst_unused:UNUSED_PAD src0_sel:DWORD src1_sel:WORD_1
	v_fma_f16 v70, v23, v40, -v70
	v_mul_f16_sdwa v23, v23, v40 dst_sel:DWORD dst_unused:UNUSED_PAD src0_sel:DWORD src1_sel:WORD_1
	v_fma_f16 v23, v24, v40, v23
	v_pack_b32_f16 v83, v70, v23
	ds_read2st64_b32 v[23:24], v50 offset0:112 offset1:120
	v_lshrrev_b32_e32 v40, 16, v110
	v_mul_f16_sdwa v70, v40, v41 dst_sel:DWORD dst_unused:UNUSED_PAD src0_sel:DWORD src1_sel:WORD_1
	v_fma_f16 v70, v110, v41, -v70
	v_fma_f16 v40, v40, v41, v88
	s_waitcnt lgkmcnt(0)
	v_lshrrev_b32_e32 v41, 16, v24
	v_pack_b32_f16 v40, v70, v40
	s_waitcnt vmcnt(11)
	v_mul_f16_sdwa v70, v41, v42 dst_sel:DWORD dst_unused:UNUSED_PAD src0_sel:DWORD src1_sel:WORD_1
	v_fma_f16 v70, v24, v42, -v70
	v_mul_f16_sdwa v24, v24, v42 dst_sel:DWORD dst_unused:UNUSED_PAD src0_sel:DWORD src1_sel:WORD_1
	v_fma_f16 v24, v41, v42, v24
	v_pack_b32_f16 v24, v70, v24
	v_lshrrev_b32_e32 v70, 16, v98
	s_waitcnt vmcnt(10)
	v_mul_f16_sdwa v41, v70, v43 dst_sel:DWORD dst_unused:UNUSED_PAD src0_sel:DWORD src1_sel:WORD_1
	v_fma_f16 v91, v98, v43, -v41
	ds_read2st64_b32 v[41:42], v50 offset0:160 offset1:168
	v_mul_f16_sdwa v98, v98, v43 dst_sel:DWORD dst_unused:UNUSED_PAD src0_sel:DWORD src1_sel:WORD_1
	v_fma_f16 v43, v70, v43, v98
	v_pack_b32_f16 v43, v91, v43
	global_load_dword v88, v101, s[6:7]
	s_waitcnt lgkmcnt(0)
	v_lshrrev_b32_e32 v70, 16, v42
	s_waitcnt vmcnt(10)
	v_mul_f16_sdwa v91, v70, v44 dst_sel:DWORD dst_unused:UNUSED_PAD src0_sel:DWORD src1_sel:WORD_1
	v_fma_f16 v98, v42, v44, -v91
	global_load_dword v91, v93, s[6:7]
	v_mul_f16_sdwa v42, v42, v44 dst_sel:DWORD dst_unused:UNUSED_PAD src0_sel:DWORD src1_sel:WORD_1
	v_fma_f16 v42, v70, v44, v42
	v_pack_b32_f16 v42, v98, v42
	ds_read2st64_b32 v[97:98], v50 offset0:32 offset1:40
	v_lshrrev_b32_e32 v44, 16, v109
	s_waitcnt vmcnt(10)
	v_mul_f16_sdwa v70, v44, v45 dst_sel:DWORD dst_unused:UNUSED_PAD src0_sel:DWORD src1_sel:WORD_1
	v_mul_f16_sdwa v93, v109, v45 dst_sel:DWORD dst_unused:UNUSED_PAD src0_sel:DWORD src1_sel:WORD_1
	v_fma_f16 v70, v109, v45, -v70
	v_fma_f16 v44, v44, v45, v93
	v_pack_b32_f16 v44, v70, v44
	ds_write2st64_b32 v50, v0, v44 offset1:8
	s_waitcnt lgkmcnt(1)
	v_lshrrev_b32_e32 v0, 16, v97
	s_waitcnt vmcnt(9)
	v_mul_f16_sdwa v45, v0, v46 dst_sel:DWORD dst_unused:UNUSED_PAD src0_sel:DWORD src1_sel:WORD_1
	v_mul_f16_sdwa v70, v97, v46 dst_sel:DWORD dst_unused:UNUSED_PAD src0_sel:DWORD src1_sel:WORD_1
	v_fma_f16 v45, v97, v46, -v45
	v_fma_f16 v0, v0, v46, v70
	v_pack_b32_f16 v0, v45, v0
	v_lshrrev_b32_e32 v45, 16, v92
	s_waitcnt vmcnt(8)
	v_mul_f16_sdwa v70, v45, v103 dst_sel:DWORD dst_unused:UNUSED_PAD src0_sel:DWORD src1_sel:WORD_1
	v_fma_f16 v70, v92, v103, -v70
	v_mul_f16_sdwa v92, v92, v103 dst_sel:DWORD dst_unused:UNUSED_PAD src0_sel:DWORD src1_sel:WORD_1
	v_fma_f16 v45, v45, v103, v92
	v_pack_b32_f16 v45, v70, v45
	v_or_b32_e32 v70, 0xa000, v50
	global_load_dword v70, v70, s[6:7]
	ds_write2st64_b32 v50, v48, v45 offset0:48 offset1:56
	global_load_dword v89, v102, s[6:7]
	global_load_dword v44, v96, s[6:7]
	;; [unrolled: 1-line block ×4, first 2 shown]
	ds_read2st64_b32 v[95:96], v50 offset0:80 offset1:88
	s_movk_i32 s6, 0x1ff
	s_movk_i32 s7, 0xffe
	s_waitcnt lgkmcnt(0)
	v_lshrrev_b32_e32 v45, 16, v95
	s_waitcnt vmcnt(9)
	v_mul_f16_sdwa v48, v45, v104 dst_sel:DWORD dst_unused:UNUSED_PAD src0_sel:DWORD src1_sel:WORD_1
	v_mul_f16_sdwa v92, v95, v104 dst_sel:DWORD dst_unused:UNUSED_PAD src0_sel:DWORD src1_sel:WORD_1
	v_fma_f16 v48, v95, v104, -v48
	v_fma_f16 v45, v45, v104, v92
	v_pack_b32_f16 v45, v48, v45
	v_lshrrev_b32_e32 v48, 16, v111
	v_mul_f16_sdwa v92, v48, v86 dst_sel:DWORD dst_unused:UNUSED_PAD src0_sel:DWORD src1_sel:WORD_1
	v_fma_f16 v94, v111, v86, -v92
	ds_read2st64_b32 v[92:93], v50 offset0:128 offset1:136
	v_mul_f16_sdwa v95, v111, v86 dst_sel:DWORD dst_unused:UNUSED_PAD src0_sel:DWORD src1_sel:WORD_1
	v_fma_f16 v48, v48, v86, v95
	v_pack_b32_f16 v48, v94, v48
	ds_write2st64_b32 v50, v40, v48 offset0:96 offset1:104
	s_waitcnt lgkmcnt(1)
	v_lshrrev_b32_e32 v40, 16, v92
	v_mul_f16_sdwa v48, v40, v84 dst_sel:DWORD dst_unused:UNUSED_PAD src0_sel:DWORD src1_sel:WORD_1
	v_mul_f16_sdwa v86, v92, v84 dst_sel:DWORD dst_unused:UNUSED_PAD src0_sel:DWORD src1_sel:WORD_1
	v_fma_f16 v48, v92, v84, -v48
	v_fma_f16 v40, v40, v84, v86
	ds_read2st64_b32 v[94:95], v50 offset0:176 offset1:184
	v_pack_b32_f16 v40, v48, v40
	v_lshrrev_b32_e32 v48, 16, v99
	v_mul_f16_sdwa v84, v48, v85 dst_sel:DWORD dst_unused:UNUSED_PAD src0_sel:DWORD src1_sel:WORD_1
	v_mul_f16_sdwa v86, v99, v85 dst_sel:DWORD dst_unused:UNUSED_PAD src0_sel:DWORD src1_sel:WORD_1
	v_fma_f16 v84, v99, v85, -v84
	v_fma_f16 v48, v48, v85, v86
	v_pack_b32_f16 v48, v84, v48
	ds_write2st64_b32 v50, v43, v48 offset0:144 offset1:152
	s_waitcnt lgkmcnt(1)
	v_lshrrev_b32_e32 v43, 16, v94
	s_waitcnt vmcnt(6)
	v_mul_f16_sdwa v48, v43, v88 dst_sel:DWORD dst_unused:UNUSED_PAD src0_sel:DWORD src1_sel:WORD_1
	v_mul_f16_sdwa v84, v94, v88 dst_sel:DWORD dst_unused:UNUSED_PAD src0_sel:DWORD src1_sel:WORD_1
	v_fma_f16 v48, v94, v88, -v48
	v_fma_f16 v43, v43, v88, v84
	v_pack_b32_f16 v43, v48, v43
	v_lshrrev_b32_e32 v48, 16, v21
	s_waitcnt vmcnt(3)
	v_mul_f16_sdwa v84, v48, v89 dst_sel:DWORD dst_unused:UNUSED_PAD src0_sel:DWORD src1_sel:WORD_1
	v_fma_f16 v84, v21, v89, -v84
	v_mul_f16_sdwa v21, v21, v89 dst_sel:DWORD dst_unused:UNUSED_PAD src0_sel:DWORD src1_sel:WORD_1
	v_fma_f16 v21, v48, v89, v21
	v_pack_b32_f16 v21, v84, v21
	ds_write2st64_b32 v50, v21, v82 offset0:16 offset1:24
	v_lshrrev_b32_e32 v21, 16, v98
	v_mul_f16_sdwa v48, v21, v90 dst_sel:DWORD dst_unused:UNUSED_PAD src0_sel:DWORD src1_sel:WORD_1
	v_mul_f16_sdwa v82, v98, v90 dst_sel:DWORD dst_unused:UNUSED_PAD src0_sel:DWORD src1_sel:WORD_1
	v_fma_f16 v48, v98, v90, -v48
	v_fma_f16 v21, v21, v90, v82
	v_pack_b32_f16 v21, v48, v21
	ds_write2st64_b32 v50, v0, v21 offset0:32 offset1:40
	v_lshrrev_b32_e32 v0, 16, v22
	v_mul_f16_sdwa v21, v0, v91 dst_sel:DWORD dst_unused:UNUSED_PAD src0_sel:DWORD src1_sel:WORD_1
	v_fma_f16 v21, v22, v91, -v21
	v_mul_f16_sdwa v22, v22, v91 dst_sel:DWORD dst_unused:UNUSED_PAD src0_sel:DWORD src1_sel:WORD_1
	v_fma_f16 v0, v0, v91, v22
	v_pack_b32_f16 v0, v21, v0
	ds_write2st64_b32 v50, v0, v83 offset0:64 offset1:72
	v_lshrrev_b32_e32 v0, 16, v96
	v_mul_f16_sdwa v21, v0, v100 dst_sel:DWORD dst_unused:UNUSED_PAD src0_sel:DWORD src1_sel:WORD_1
	v_mul_f16_sdwa v22, v96, v100 dst_sel:DWORD dst_unused:UNUSED_PAD src0_sel:DWORD src1_sel:WORD_1
	v_fma_f16 v21, v96, v100, -v21
	v_fma_f16 v0, v0, v100, v22
	v_pack_b32_f16 v0, v21, v0
	ds_write2st64_b32 v50, v45, v0 offset0:80 offset1:88
	v_lshrrev_b32_e32 v0, 16, v23
	s_waitcnt vmcnt(2)
	v_mul_f16_sdwa v21, v0, v44 dst_sel:DWORD dst_unused:UNUSED_PAD src0_sel:DWORD src1_sel:WORD_1
	v_mul_f16_sdwa v22, v23, v44 dst_sel:DWORD dst_unused:UNUSED_PAD src0_sel:DWORD src1_sel:WORD_1
	v_fma_f16 v21, v23, v44, -v21
	v_fma_f16 v0, v0, v44, v22
	v_pack_b32_f16 v0, v21, v0
	ds_write2st64_b32 v50, v0, v24 offset0:112 offset1:120
	v_lshrrev_b32_e32 v0, 16, v93
	s_waitcnt vmcnt(1)
	v_mul_f16_sdwa v21, v0, v46 dst_sel:DWORD dst_unused:UNUSED_PAD src0_sel:DWORD src1_sel:WORD_1
	v_mul_f16_sdwa v22, v93, v46 dst_sel:DWORD dst_unused:UNUSED_PAD src0_sel:DWORD src1_sel:WORD_1
	v_fma_f16 v21, v93, v46, -v21
	v_fma_f16 v0, v0, v46, v22
	v_pack_b32_f16 v0, v21, v0
	ds_write2st64_b32 v50, v40, v0 offset0:128 offset1:136
	v_lshrrev_b32_e32 v0, 16, v41
	v_mul_f16_sdwa v21, v0, v70 dst_sel:DWORD dst_unused:UNUSED_PAD src0_sel:DWORD src1_sel:WORD_1
	v_mul_f16_sdwa v22, v41, v70 dst_sel:DWORD dst_unused:UNUSED_PAD src0_sel:DWORD src1_sel:WORD_1
	v_fma_f16 v21, v41, v70, -v21
	v_fma_f16 v0, v0, v70, v22
	v_pack_b32_f16 v0, v21, v0
	ds_write2st64_b32 v50, v0, v42 offset0:160 offset1:168
	v_lshrrev_b32_e32 v0, 16, v95
	s_waitcnt vmcnt(0)
	v_mul_f16_sdwa v21, v0, v97 dst_sel:DWORD dst_unused:UNUSED_PAD src0_sel:DWORD src1_sel:WORD_1
	v_mul_f16_sdwa v22, v95, v97 dst_sel:DWORD dst_unused:UNUSED_PAD src0_sel:DWORD src1_sel:WORD_1
	v_fma_f16 v21, v95, v97, -v21
	v_fma_f16 v0, v0, v97, v22
	v_pack_b32_f16 v0, v21, v0
	ds_write2st64_b32 v50, v43, v0 offset0:176 offset1:184
	s_waitcnt lgkmcnt(0)
	s_barrier
	ds_read2st64_b32 v[82:83], v50 offset1:8
	ds_read2st64_b32 v[41:42], v50 offset0:32 offset1:40
	ds_read2st64_b32 v[84:85], v50 offset0:48 offset1:56
	;; [unrolled: 1-line block ×10, first 2 shown]
	s_waitcnt lgkmcnt(6)
	v_sub_f16_e32 v43, v83, v89
	v_lshrrev_b32_e32 v0, 16, v83
	s_waitcnt lgkmcnt(4)
	v_sub_f16_e32 v46, v85, v93
	v_lshrrev_b32_e32 v24, 16, v85
	v_fma_f16 v45, v83, 2.0, -v43
	v_fma_f16 v70, v85, 2.0, -v46
	v_pk_add_f16 v83, v82, v88 neg_lo:[0,1] neg_hi:[0,1]
	v_pk_add_f16 v85, v84, v92 neg_lo:[0,1] neg_hi:[0,1]
	s_waitcnt lgkmcnt(1)
	v_pk_add_f16 v86, v95, v100 neg_lo:[0,1] neg_hi:[0,1]
	s_waitcnt lgkmcnt(0)
	v_pk_add_f16 v88, v97, v102 neg_lo:[0,1] neg_hi:[0,1]
	v_sub_f16_sdwa v44, v0, v89 dst_sel:DWORD dst_unused:UNUSED_PAD src0_sel:DWORD src1_sel:WORD_1
	v_sub_f16_sdwa v48, v24, v93 dst_sel:DWORD dst_unused:UNUSED_PAD src0_sel:DWORD src1_sel:WORD_1
	v_pk_fma_f16 v82, v82, 2.0, v83 op_sel_hi:[1,0,1] neg_lo:[0,0,1] neg_hi:[0,0,1]
	v_pk_fma_f16 v84, v84, 2.0, v85 op_sel_hi:[1,0,1] neg_lo:[0,0,1] neg_hi:[0,0,1]
	;; [unrolled: 1-line block ×4, first 2 shown]
	v_add_f16_sdwa v93, v83, v85 dst_sel:DWORD dst_unused:UNUSED_PAD src0_sel:DWORD src1_sel:WORD_1
	v_lshrrev_b32_e32 v95, 16, v83
	v_add_f16_sdwa v102, v86, v88 dst_sel:DWORD dst_unused:UNUSED_PAD src0_sel:DWORD src1_sel:WORD_1
	v_lshrrev_b32_e32 v103, 16, v86
	v_pk_add_f16 v84, v82, v84 neg_lo:[0,1] neg_hi:[0,1]
	v_sub_f16_e32 v85, v95, v85
	v_pk_add_f16 v100, v92, v89 neg_lo:[0,1] neg_hi:[0,1]
	v_sub_f16_e32 v104, v103, v88
	v_fma_f16 v89, v102, s1, v93
	v_lshrrev_b32_e32 v21, 16, v41
	v_lshrrev_b32_e32 v88, 16, v84
	v_fma_f16 v108, v104, s1, v85
	v_fma_f16 v109, v104, s1, v89
	v_fma_f16 v83, v83, 2.0, -v93
	v_fma_f16 v97, v95, 2.0, -v85
	v_add_f16_sdwa v95, v84, v100 dst_sel:DWORD dst_unused:UNUSED_PAD src0_sel:DWORD src1_sel:WORD_1
	v_sub_f16_e32 v98, v88, v100
	v_fma_f16 v108, v102, s0, v108
	v_fma_f16 v89, v93, 2.0, -v109
	v_sub_f16_e32 v93, v41, v90
	v_fma_f16 v86, v86, 2.0, -v102
	v_sub_f16_sdwa v90, v21, v90 dst_sel:DWORD dst_unused:UNUSED_PAD src0_sel:DWORD src1_sel:WORD_1
	v_pk_fma_f16 v82, v82, 2.0, v84 op_sel_hi:[1,0,1] neg_lo:[0,0,1] neg_hi:[0,0,1]
	v_fma_f16 v84, v84, 2.0, -v95
	v_fma_f16 v88, v88, 2.0, -v98
	;; [unrolled: 1-line block ×3, first 2 shown]
	v_pk_fma_f16 v92, v92, 2.0, v100 op_sel_hi:[1,0,1] neg_lo:[0,0,1] neg_hi:[0,0,1]
	v_fma_f16 v100, v21, 2.0, -v90
	v_fma_f16 v21, v103, 2.0, -v104
	v_fma_f16 v102, v86, s0, v83
	v_pack_b32_f16 v85, v89, v85
	v_pack_b32_f16 v84, v84, v88
	ds_read2st64_b32 v[88:89], v50 offset0:176 offset1:184
	v_fma_f16 v103, v21, s1, v102
	v_fma_f16 v21, v21, s0, v97
	v_fma_f16 v104, v86, s0, v21
	v_fma_f16 v21, v83, 2.0, -v103
	v_fma_f16 v83, v97, 2.0, -v104
	v_pack_b32_f16 v83, v21, v83
	v_pk_add_f16 v21, v82, v92 neg_lo:[0,1] neg_hi:[0,1]
	v_lshrrev_b32_e32 v40, 16, v22
	v_pk_fma_f16 v82, v82, 2.0, v21 op_sel_hi:[1,0,1] neg_lo:[0,0,1] neg_hi:[0,0,1]
	s_waitcnt lgkmcnt(0)
	s_barrier
	ds_write_b128 v69, v[82:85]
	v_sub_f16_sdwa v82, v40, v88 dst_sel:DWORD dst_unused:UNUSED_PAD src0_sel:DWORD src1_sel:WORD_1
	v_fma_f16 v24, v24, 2.0, -v48
	v_sub_f16_e32 v86, v22, v88
	v_add_f16_e32 v48, v43, v48
	v_add_f16_e32 v85, v93, v82
	v_sub_f16_e32 v46, v44, v46
	v_fma_f16 v43, v43, 2.0, -v48
	v_sub_f16_e32 v88, v90, v86
	v_fma_f16 v83, v93, 2.0, -v85
	v_fma_f16 v0, v0, 2.0, -v44
	;; [unrolled: 1-line block ×5, first 2 shown]
	v_fma_f16 v82, v83, s0, v43
	v_fma_f16 v82, v84, s1, v82
	;; [unrolled: 1-line block ×3, first 2 shown]
	v_fma_f16 v41, v41, 2.0, -v93
	v_fma_f16 v22, v22, 2.0, -v86
	v_fma_f16 v83, v83, s0, v84
	v_fma_f16 v84, v85, s1, v48
	v_sub_f16_e32 v116, v42, v91
	v_sub_f16_e32 v70, v45, v70
	;; [unrolled: 1-line block ×5, first 2 shown]
	v_fma_f16 v84, v88, s1, v84
	v_fma_f16 v88, v88, s1, v46
	v_lshrrev_b32_e32 v102, 16, v94
	v_lshrrev_b32_e32 v111, 16, v96
	;; [unrolled: 1-line block ×3, first 2 shown]
	v_fma_f16 v93, v42, 2.0, -v116
	v_lshrrev_b32_e32 v118, 16, v23
	v_fma_f16 v45, v45, 2.0, -v70
	v_fma_f16 v0, v0, 2.0, -v24
	;; [unrolled: 1-line block ×4, first 2 shown]
	v_fma_f16 v85, v85, s0, v88
	v_sub_f16_e32 v110, v94, v99
	v_sub_f16_sdwa v99, v102, v99 dst_sel:DWORD dst_unused:UNUSED_PAD src0_sel:DWORD src1_sel:WORD_1
	v_sub_f16_sdwa v113, v111, v101 dst_sel:DWORD dst_unused:UNUSED_PAD src0_sel:DWORD src1_sel:WORD_1
	v_sub_f16_sdwa v117, v115, v91 dst_sel:DWORD dst_unused:UNUSED_PAD src0_sel:DWORD src1_sel:WORD_1
	v_sub_f16_sdwa v120, v118, v89 dst_sel:DWORD dst_unused:UNUSED_PAD src0_sel:DWORD src1_sel:WORD_1
	v_sub_f16_e32 v41, v45, v41
	v_sub_f16_e32 v42, v0, v42
	;; [unrolled: 1-line block ×5, first 2 shown]
	v_fma_f16 v89, v45, 2.0, -v41
	v_fma_f16 v90, v0, 2.0, -v42
	v_add_f16_e32 v86, v70, v40
	v_fma_f16 v97, v24, 2.0, -v88
	v_fma_f16 v0, v102, 2.0, -v99
	;; [unrolled: 1-line block ×5, first 2 shown]
	v_add_f16_e32 v45, v110, v113
	v_fma_f16 v94, v94, 2.0, -v110
	v_fma_f16 v114, v96, 2.0, -v112
	;; [unrolled: 1-line block ×3, first 2 shown]
	v_sub_f16_e32 v22, v0, v22
	v_fma_f16 v48, v110, 2.0, -v45
	v_sub_f16_e32 v40, v24, v40
	v_add_f16_e32 v110, v116, v120
	v_fma_f16 v91, v43, 2.0, -v82
	v_fma_f16 v101, v46, 2.0, -v85
	;; [unrolled: 1-line block ×3, first 2 shown]
	v_sub_f16_e32 v43, v94, v114
	v_fma_f16 v0, v0, 2.0, -v22
	v_sub_f16_e32 v46, v99, v112
	v_fma_f16 v24, v24, 2.0, -v40
	;; [unrolled: 2-line block ×3, first 2 shown]
	v_fma_f16 v92, v44, 2.0, -v83
	v_fma_f16 v96, v70, 2.0, -v86
	;; [unrolled: 1-line block ×4, first 2 shown]
	v_sub_f16_e32 v23, v93, v23
	v_fma_f16 v112, v117, 2.0, -v111
	v_sub_f16_e32 v94, v0, v24
	v_fma_f16 v24, v102, s0, v48
	v_fma_f16 v99, v112, s1, v24
	;; [unrolled: 1-line block ×3, first 2 shown]
	v_sub_f16_e32 v112, v22, v23
	v_fma_f16 v113, v22, 2.0, -v112
	v_fma_f16 v22, v110, s1, v45
	v_fma_f16 v114, v111, s1, v22
	;; [unrolled: 1-line block ×3, first 2 shown]
	v_fma_f16 v93, v93, 2.0, -v23
	v_fma_f16 v102, v102, s0, v24
	v_fma_f16 v110, v110, s0, v22
	v_pack_b32_f16 v24, v109, v108
	v_pack_b32_f16 v23, v95, v98
	v_pack_b32_f16 v22, v103, v104
	ds_write_b128 v69, v[21:24] offset:16
	v_pack_b32_f16 v24, v100, v101
	v_pack_b32_f16 v23, v96, v97
	;; [unrolled: 1-line block ×4, first 2 shown]
	ds_write_b128 v69, v[21:24] offset:16384
	v_pack_b32_f16 v21, v41, v42
	buffer_load_dword v41, off, s[20:23], 0 offset:28 ; 4-byte Folded Reload
	v_sub_f16_e32 v93, v44, v93
	v_add_f16_e32 v40, v43, v40
	v_fma_f16 v44, v44, 2.0, -v93
	v_fma_f16 v0, v0, 2.0, -v94
	;; [unrolled: 1-line block ×7, first 2 shown]
	v_pack_b32_f16 v24, v84, v85
	v_pack_b32_f16 v23, v86, v88
	;; [unrolled: 1-line block ×3, first 2 shown]
	s_waitcnt vmcnt(0)
	ds_write_b128 v41, v[21:24] offset:16
	v_pack_b32_f16 v24, v45, v46
	v_pack_b32_f16 v23, v43, v113
	;; [unrolled: 1-line block ×4, first 2 shown]
	ds_write_b128 v69, v[21:24] offset:32768
	v_pack_b32_f16 v24, v114, v110
	v_pack_b32_f16 v23, v40, v112
	;; [unrolled: 1-line block ×4, first 2 shown]
	ds_write_b128 v71, v[21:24] offset:16
	s_waitcnt lgkmcnt(0)
	s_barrier
	ds_read2st64_b32 v[23:24], v50 offset1:8
	ds_read2st64_b32 v[21:22], v50 offset0:16 offset1:24
	ds_read2st64_b32 v[69:70], v50 offset0:48 offset1:56
	;; [unrolled: 1-line block ×8, first 2 shown]
	s_waitcnt lgkmcnt(6)
	v_lshrrev_b32_e32 v42, 16, v69
	v_mul_f16_sdwa v114, v2, v42 dst_sel:DWORD dst_unused:UNUSED_PAD src0_sel:WORD_1 src1_sel:DWORD
	v_lshrrev_b32_e32 v86, 16, v70
	v_fma_f16 v114, v2, v69, v114
	v_mul_f16_sdwa v69, v2, v69 dst_sel:DWORD dst_unused:UNUSED_PAD src0_sel:WORD_1 src1_sel:DWORD
	s_waitcnt lgkmcnt(4)
	v_lshrrev_b32_e32 v44, 16, v84
	v_fma_f16 v42, v2, v42, -v69
	v_mul_f16_sdwa v69, v2, v86 dst_sel:DWORD dst_unused:UNUSED_PAD src0_sel:WORD_1 src1_sel:DWORD
	v_mul_f16_sdwa v115, v4, v84 dst_sel:DWORD dst_unused:UNUSED_PAD src0_sel:WORD_1 src1_sel:DWORD
	v_lshrrev_b32_e32 v103, 16, v85
	v_fma_f16 v69, v2, v70, v69
	v_mul_f16_sdwa v70, v2, v70 dst_sel:DWORD dst_unused:UNUSED_PAD src0_sel:WORD_1 src1_sel:DWORD
	v_fma_f16 v115, v4, v44, -v115
	v_mul_f16_sdwa v44, v4, v44 dst_sel:DWORD dst_unused:UNUSED_PAD src0_sel:WORD_1 src1_sel:DWORD
	ds_read2st64_b32 v[96:97], v50 offset0:80 offset1:88
	s_waitcnt lgkmcnt(1)
	v_lshrrev_b32_e32 v71, 16, v94
	v_fma_f16 v44, v4, v84, v44
	v_fma_f16 v70, v2, v86, -v70
	v_mul_f16_sdwa v84, v4, v103 dst_sel:DWORD dst_unused:UNUSED_PAD src0_sel:WORD_1 src1_sel:DWORD
	v_mul_f16_sdwa v86, v1, v94 dst_sel:DWORD dst_unused:UNUSED_PAD src0_sel:WORD_1 src1_sel:DWORD
	v_lshrrev_b32_e32 v110, 16, v95
	v_fma_f16 v84, v4, v85, v84
	v_mul_f16_sdwa v85, v4, v85 dst_sel:DWORD dst_unused:UNUSED_PAD src0_sel:WORD_1 src1_sel:DWORD
	v_fma_f16 v86, v1, v71, -v86
	v_mul_f16_sdwa v71, v1, v71 dst_sel:DWORD dst_unused:UNUSED_PAD src0_sel:WORD_1 src1_sel:DWORD
	v_lshrrev_b32_e32 v43, 16, v83
	v_fma_f16 v71, v1, v94, v71
	v_fma_f16 v85, v4, v103, -v85
	v_mul_f16_sdwa v94, v1, v110 dst_sel:DWORD dst_unused:UNUSED_PAD src0_sel:WORD_1 src1_sel:DWORD
	v_mul_f16_sdwa v103, v3, v83 dst_sel:DWORD dst_unused:UNUSED_PAD src0_sel:WORD_1 src1_sel:DWORD
	v_lshrrev_b32_e32 v111, 16, v82
	v_fma_f16 v94, v1, v95, v94
	v_mul_f16_sdwa v95, v1, v95 dst_sel:DWORD dst_unused:UNUSED_PAD src0_sel:WORD_1 src1_sel:DWORD
	v_fma_f16 v103, v3, v43, -v103
	v_mul_f16_sdwa v43, v3, v43 dst_sel:DWORD dst_unused:UNUSED_PAD src0_sel:WORD_1 src1_sel:DWORD
	v_fma_f16 v43, v3, v83, v43
	v_fma_f16 v83, v1, v110, -v95
	v_mul_f16_sdwa v95, v2, v111 dst_sel:DWORD dst_unused:UNUSED_PAD src0_sel:WORD_1 src1_sel:DWORD
	s_waitcnt lgkmcnt(0)
	v_lshrrev_b32_e32 v102, 16, v96
	v_lshrrev_b32_e32 v112, 16, v97
	v_fma_f16 v95, v2, v82, v95
	v_mul_f16_sdwa v82, v2, v82 dst_sel:DWORD dst_unused:UNUSED_PAD src0_sel:WORD_1 src1_sel:DWORD
	v_mul_f16_sdwa v110, v3, v96 dst_sel:DWORD dst_unused:UNUSED_PAD src0_sel:WORD_1 src1_sel:DWORD
	v_fma_f16 v110, v3, v102, -v110
	v_mul_f16_sdwa v102, v3, v102 dst_sel:DWORD dst_unused:UNUSED_PAD src0_sel:WORD_1 src1_sel:DWORD
	v_fma_f16 v82, v2, v111, -v82
	v_mul_f16_sdwa v2, v3, v112 dst_sel:DWORD dst_unused:UNUSED_PAD src0_sel:WORD_1 src1_sel:DWORD
	v_lshrrev_b32_e32 v40, 16, v22
	ds_read2st64_b32 v[98:99], v50 offset0:128 offset1:136
	v_fma_f16 v96, v3, v96, v102
	v_fma_f16 v102, v3, v97, v2
	v_mul_f16_sdwa v2, v3, v97 dst_sel:DWORD dst_unused:UNUSED_PAD src0_sel:WORD_1 src1_sel:DWORD
	v_mul_f16_sdwa v97, v1, v22 dst_sel:DWORD dst_unused:UNUSED_PAD src0_sel:WORD_1 src1_sel:DWORD
	v_lshrrev_b32_e32 v45, 16, v89
	v_fma_f16 v97, v1, v40, -v97
	v_mul_f16_sdwa v40, v1, v40 dst_sel:DWORD dst_unused:UNUSED_PAD src0_sel:WORD_1 src1_sel:DWORD
	v_fma_f16 v1, v1, v22, v40
	v_mul_f16_sdwa v22, v25, v45 dst_sel:DWORD dst_unused:UNUSED_PAD src0_sel:WORD_1 src1_sel:DWORD
	v_lshrrev_b32_e32 v46, 16, v90
	v_fma_f16 v22, v25, v89, v22
	v_mul_f16_sdwa v89, v25, v89 dst_sel:DWORD dst_unused:UNUSED_PAD src0_sel:WORD_1 src1_sel:DWORD
	v_lshrrev_b32_e32 v113, 16, v88
	v_fma_f16 v40, v3, v112, -v2
	v_mul_f16_sdwa v2, v4, v88 dst_sel:DWORD dst_unused:UNUSED_PAD src0_sel:WORD_1 src1_sel:DWORD
	v_fma_f16 v45, v25, v45, -v89
	v_mul_f16_sdwa v89, v26, v46 dst_sel:DWORD dst_unused:UNUSED_PAD src0_sel:WORD_1 src1_sel:DWORD
	ds_read2st64_b32 v[100:101], v50 offset0:176 offset1:184
	s_waitcnt lgkmcnt(1)
	v_lshrrev_b32_e32 v104, 16, v98
	v_lshrrev_b32_e32 v108, 16, v91
	v_fma_f16 v111, v4, v113, -v2
	v_mul_f16_sdwa v2, v4, v113 dst_sel:DWORD dst_unused:UNUSED_PAD src0_sel:WORD_1 src1_sel:DWORD
	v_fma_f16 v89, v26, v90, v89
	v_mul_f16_sdwa v90, v26, v90 dst_sel:DWORD dst_unused:UNUSED_PAD src0_sel:WORD_1 src1_sel:DWORD
	v_mul_f16_sdwa v112, v25, v98 dst_sel:DWORD dst_unused:UNUSED_PAD src0_sel:WORD_1 src1_sel:DWORD
	v_fma_f16 v88, v4, v88, v2
	v_lshrrev_b32_e32 v2, 16, v99
	v_fma_f16 v46, v26, v46, -v90
	v_mul_f16_sdwa v90, v26, v108 dst_sel:DWORD dst_unused:UNUSED_PAD src0_sel:WORD_1 src1_sel:DWORD
	v_fma_f16 v112, v25, v104, -v112
	v_mul_f16_sdwa v104, v25, v104 dst_sel:DWORD dst_unused:UNUSED_PAD src0_sel:WORD_1 src1_sel:DWORD
	v_fma_f16 v90, v26, v91, v90
	v_mul_f16_sdwa v91, v26, v91 dst_sel:DWORD dst_unused:UNUSED_PAD src0_sel:WORD_1 src1_sel:DWORD
	v_fma_f16 v98, v25, v98, v104
	v_mul_f16_sdwa v104, v25, v2 dst_sel:DWORD dst_unused:UNUSED_PAD src0_sel:WORD_1 src1_sel:DWORD
	v_lshrrev_b32_e32 v48, 16, v93
	v_lshrrev_b32_e32 v3, 16, v92
	v_fma_f16 v91, v26, v108, -v91
	v_fma_f16 v104, v25, v99, v104
	v_mul_f16_sdwa v99, v25, v99 dst_sel:DWORD dst_unused:UNUSED_PAD src0_sel:WORD_1 src1_sel:DWORD
	v_mul_f16_sdwa v108, v27, v93 dst_sel:DWORD dst_unused:UNUSED_PAD src0_sel:WORD_1 src1_sel:DWORD
	v_fma_f16 v108, v27, v48, -v108
	v_mul_f16_sdwa v48, v27, v48 dst_sel:DWORD dst_unused:UNUSED_PAD src0_sel:WORD_1 src1_sel:DWORD
	v_fma_f16 v25, v25, v2, -v99
	v_mul_f16_sdwa v2, v26, v3 dst_sel:DWORD dst_unused:UNUSED_PAD src0_sel:WORD_1 src1_sel:DWORD
	s_waitcnt lgkmcnt(0)
	v_lshrrev_b32_e32 v109, 16, v100
	v_lshrrev_b32_e32 v4, 16, v101
	v_fma_f16 v48, v27, v93, v48
	v_fma_f16 v93, v26, v92, v2
	v_mul_f16_sdwa v2, v26, v92 dst_sel:DWORD dst_unused:UNUSED_PAD src0_sel:WORD_1 src1_sel:DWORD
	v_mul_f16_sdwa v99, v27, v109 dst_sel:DWORD dst_unused:UNUSED_PAD src0_sel:WORD_1 src1_sel:DWORD
	v_fma_f16 v26, v26, v3, -v2
	v_mul_f16_sdwa v2, v27, v4 dst_sel:DWORD dst_unused:UNUSED_PAD src0_sel:WORD_1 src1_sel:DWORD
	v_mul_f16_sdwa v92, v27, v100 dst_sel:DWORD dst_unused:UNUSED_PAD src0_sel:WORD_1 src1_sel:DWORD
	v_fma_f16 v99, v27, v100, v99
	v_fma_f16 v100, v27, v101, v2
	v_mul_f16_sdwa v2, v27, v101 dst_sel:DWORD dst_unused:UNUSED_PAD src0_sel:WORD_1 src1_sel:DWORD
	v_fma_f16 v92, v27, v109, -v92
	v_fma_f16 v27, v27, v4, -v2
	v_sub_f16_e32 v2, v23, v44
	v_sub_f16_e32 v45, v97, v45
	v_lshrrev_b32_e32 v0, 16, v23
	v_fma_f16 v4, v23, 2.0, -v2
	v_sub_f16_e32 v23, v114, v89
	v_sub_f16_e32 v22, v1, v22
	v_fma_f16 v89, v97, 2.0, -v45
	v_sub_f16_e32 v48, v43, v48
	v_sub_f16_e32 v97, v103, v108
	;; [unrolled: 1-line block ×3, first 2 shown]
	v_fma_f16 v46, v114, 2.0, -v23
	v_fma_f16 v1, v1, 2.0, -v22
	;; [unrolled: 1-line block ×4, first 2 shown]
	v_sub_f16_e32 v3, v0, v115
	v_fma_f16 v42, v42, 2.0, -v44
	v_sub_f16_e32 v46, v4, v46
	v_add_f16_e32 v44, v2, v44
	v_sub_f16_e32 v43, v1, v43
	v_sub_f16_e32 v103, v89, v103
	v_fma_f16 v4, v4, 2.0, -v46
	v_sub_f16_e32 v23, v3, v23
	v_fma_f16 v108, v2, 2.0, -v44
	v_fma_f16 v1, v1, 2.0, -v43
	;; [unrolled: 1-line block ×3, first 2 shown]
	v_add_f16_e32 v89, v22, v97
	v_sub_f16_e32 v48, v45, v48
	v_fma_f16 v0, v0, 2.0, -v3
	v_fma_f16 v109, v3, 2.0, -v23
	;; [unrolled: 1-line block ×4, first 2 shown]
	v_sub_f16_e32 v1, v4, v1
	v_fma_f16 v45, v4, 2.0, -v1
	v_fma_f16 v4, v22, s0, v108
	v_fma_f16 v97, v3, s0, v109
	v_sub_f16_e32 v42, v0, v42
	v_fma_f16 v3, v3, s1, v4
	v_fma_f16 v4, v22, s0, v97
	v_lshrrev_b32_e32 v41, 16, v24
	v_fma_f16 v0, v0, 2.0, -v42
	v_fma_f16 v97, v108, 2.0, -v3
	;; [unrolled: 1-line block ×3, first 2 shown]
	v_add_f16_e32 v22, v46, v103
	v_fma_f16 v103, v89, s1, v44
	v_fma_f16 v109, v48, s1, v23
	v_sub_f16_e32 v84, v24, v84
	v_sub_f16_e32 v91, v70, v91
	;; [unrolled: 1-line block ×5, first 2 shown]
	v_fma_f16 v48, v48, s1, v103
	v_fma_f16 v89, v89, s0, v109
	v_sub_f16_e32 v85, v41, v85
	v_sub_f16_e32 v90, v69, v90
	v_fma_f16 v70, v70, 2.0, -v91
	v_sub_f16_e32 v103, v86, v112
	v_sub_f16_e32 v99, v96, v99
	v_fma_f16 v109, v110, 2.0, -v92
	v_add_f16_e32 v91, v84, v91
	v_add_f16_e32 v92, v98, v92
	v_fma_f16 v0, v0, 2.0, -v2
	v_sub_f16_e32 v43, v42, v43
	v_fma_f16 v24, v24, 2.0, -v84
	v_fma_f16 v41, v41, 2.0, -v85
	;; [unrolled: 1-line block ×6, first 2 shown]
	v_sub_f16_e32 v90, v85, v90
	v_fma_f16 v84, v84, 2.0, -v91
	v_sub_f16_e32 v99, v103, v99
	v_fma_f16 v98, v98, 2.0, -v92
	v_fma_f16 v46, v46, 2.0, -v22
	;; [unrolled: 1-line block ×5, first 2 shown]
	v_sub_f16_e32 v69, v24, v69
	v_sub_f16_e32 v70, v41, v70
	v_fma_f16 v85, v85, 2.0, -v90
	v_sub_f16_e32 v96, v71, v96
	v_sub_f16_e32 v109, v86, v109
	v_fma_f16 v103, v103, 2.0, -v99
	v_fma_f16 v110, v98, s0, v84
	v_pack_b32_f16 v0, v45, v0
	v_pack_b32_f16 v45, v97, v108
	v_lshrrev_b32_e32 v101, 16, v21
	v_fma_f16 v24, v24, 2.0, -v69
	v_fma_f16 v41, v41, 2.0, -v70
	;; [unrolled: 1-line block ×4, first 2 shown]
	v_fma_f16 v112, v103, s0, v85
	v_fma_f16 v103, v103, s1, v110
	;; [unrolled: 1-line block ×3, first 2 shown]
	s_barrier
	ds_write2_b32 v72, v0, v45 offset1:8
	v_pack_b32_f16 v0, v46, v42
	v_pack_b32_f16 v23, v44, v23
	v_sub_f16_e32 v71, v24, v71
	v_sub_f16_e32 v86, v41, v86
	v_fma_f16 v98, v98, s0, v112
	v_fma_f16 v112, v99, s1, v90
	;; [unrolled: 1-line block ×3, first 2 shown]
	v_sub_f16_e32 v88, v21, v88
	v_sub_f16_e32 v110, v101, v111
	;; [unrolled: 1-line block ×8, first 2 shown]
	ds_write2_b32 v72, v0, v23 offset0:16 offset1:24
	v_pack_b32_f16 v0, v1, v2
	v_pack_b32_f16 v1, v3, v4
	v_fma_f16 v24, v24, 2.0, -v71
	v_fma_f16 v41, v41, 2.0, -v86
	;; [unrolled: 1-line block ×4, first 2 shown]
	v_add_f16_e32 v109, v69, v109
	v_sub_f16_e32 v96, v70, v96
	v_fma_f16 v92, v92, s0, v112
	v_fma_f16 v21, v21, 2.0, -v88
	v_fma_f16 v101, v101, 2.0, -v110
	;; [unrolled: 1-line block ×8, first 2 shown]
	v_add_f16_e32 v26, v88, v26
	v_sub_f16_e32 v93, v110, v93
	v_add_f16_e32 v27, v104, v27
	v_sub_f16_e32 v100, v25, v100
	ds_write2_b32 v72, v0, v1 offset0:32 offset1:40
	v_pack_b32_f16 v0, v22, v43
	v_pack_b32_f16 v1, v48, v89
	v_fma_f16 v69, v69, 2.0, -v109
	v_fma_f16 v70, v70, 2.0, -v96
	;; [unrolled: 1-line block ×4, first 2 shown]
	v_sub_f16_e32 v95, v21, v95
	v_sub_f16_e32 v82, v101, v82
	v_fma_f16 v88, v88, 2.0, -v26
	v_fma_f16 v110, v110, 2.0, -v93
	v_sub_f16_e32 v102, v94, v102
	v_sub_f16_e32 v40, v83, v40
	v_fma_f16 v104, v104, 2.0, -v27
	v_fma_f16 v25, v25, 2.0, -v100
	ds_write2_b32 v72, v0, v1 offset0:48 offset1:56
	v_pack_b32_f16 v0, v24, v41
	v_pack_b32_f16 v1, v84, v85
	v_fma_f16 v21, v21, 2.0, -v95
	v_fma_f16 v101, v101, 2.0, -v82
	;; [unrolled: 1-line block ×4, first 2 shown]
	v_fma_f16 v111, v104, s0, v88
	v_fma_f16 v112, v25, s0, v110
	ds_write2_b32 v73, v0, v1 offset1:8
	v_pack_b32_f16 v0, v69, v70
	v_pack_b32_f16 v1, v91, v90
	v_sub_f16_e32 v94, v21, v94
	v_sub_f16_e32 v83, v101, v83
	v_fma_f16 v25, v25, s1, v111
	v_fma_f16 v104, v104, s0, v112
	;; [unrolled: 1-line block ×4, first 2 shown]
	ds_write2_b32 v73, v0, v1 offset0:16 offset1:24
	v_pack_b32_f16 v0, v71, v86
	v_pack_b32_f16 v1, v103, v98
	v_fma_f16 v21, v21, 2.0, -v94
	v_fma_f16 v101, v101, 2.0, -v83
	;; [unrolled: 1-line block ×4, first 2 shown]
	v_add_f16_e32 v40, v95, v40
	v_sub_f16_e32 v102, v82, v102
	v_fma_f16 v100, v100, s1, v111
	v_fma_f16 v27, v27, s0, v112
	ds_write2_b32 v73, v0, v1 offset0:32 offset1:40
	v_pack_b32_f16 v0, v109, v96
	v_pack_b32_f16 v1, v99, v92
	v_fma_f16 v95, v95, 2.0, -v40
	v_fma_f16 v82, v82, 2.0, -v102
	;; [unrolled: 1-line block ×4, first 2 shown]
	ds_write2_b32 v73, v0, v1 offset0:48 offset1:56
	v_pack_b32_f16 v0, v21, v101
	v_pack_b32_f16 v1, v88, v110
	ds_write2_b32 v74, v0, v1 offset1:8
	v_pack_b32_f16 v0, v95, v82
	v_pack_b32_f16 v1, v26, v93
	ds_write2_b32 v74, v0, v1 offset0:16 offset1:24
	v_pack_b32_f16 v0, v94, v83
	v_pack_b32_f16 v1, v25, v104
	ds_write2_b32 v74, v0, v1 offset0:32 offset1:40
	v_pack_b32_f16 v0, v40, v102
	v_pack_b32_f16 v1, v100, v27
	ds_write2_b32 v74, v0, v1 offset0:48 offset1:56
	s_waitcnt lgkmcnt(0)
	s_barrier
	ds_read2st64_b32 v[1:2], v50 offset1:8
	ds_read2st64_b32 v[3:4], v50 offset0:48 offset1:56
	ds_read2st64_b32 v[21:22], v50 offset0:96 offset1:104
	;; [unrolled: 1-line block ×11, first 2 shown]
	s_waitcnt lgkmcnt(10)
	v_lshrrev_b32_e32 v27, 16, v3
	v_mul_f16_sdwa v108, v28, v27 dst_sel:DWORD dst_unused:UNUSED_PAD src0_sel:WORD_1 src1_sel:DWORD
	s_waitcnt lgkmcnt(9)
	v_lshrrev_b32_e32 v40, 16, v21
	v_fma_f16 v108, v28, v3, v108
	v_mul_f16_sdwa v3, v28, v3 dst_sel:DWORD dst_unused:UNUSED_PAD src0_sel:WORD_1 src1_sel:DWORD
	v_fma_f16 v3, v28, v27, -v3
	v_mul_f16_sdwa v27, v29, v40 dst_sel:DWORD dst_unused:UNUSED_PAD src0_sel:WORD_1 src1_sel:DWORD
	s_waitcnt lgkmcnt(8)
	v_lshrrev_b32_e32 v43, 16, v23
	v_fma_f16 v27, v29, v21, v27
	v_mul_f16_sdwa v21, v29, v21 dst_sel:DWORD dst_unused:UNUSED_PAD src0_sel:WORD_1 src1_sel:DWORD
	v_fma_f16 v21, v29, v40, -v21
	v_mul_f16_sdwa v40, v30, v43 dst_sel:DWORD dst_unused:UNUSED_PAD src0_sel:WORD_1 src1_sel:DWORD
	v_lshrrev_b32_e32 v45, 16, v4
	v_fma_f16 v40, v30, v23, v40
	v_mul_f16_sdwa v23, v30, v23 dst_sel:DWORD dst_unused:UNUSED_PAD src0_sel:WORD_1 src1_sel:DWORD
	v_fma_f16 v23, v30, v43, -v23
	v_mul_f16_sdwa v43, v28, v45 dst_sel:DWORD dst_unused:UNUSED_PAD src0_sel:WORD_1 src1_sel:DWORD
	;; [unrolled: 5-line block ×4, first 2 shown]
	s_waitcnt lgkmcnt(6)
	v_lshrrev_b32_e32 v90, 16, v41
	v_fma_f16 v46, v30, v24, v46
	v_mul_f16_sdwa v24, v30, v24 dst_sel:DWORD dst_unused:UNUSED_PAD src0_sel:WORD_1 src1_sel:DWORD
	v_fma_f16 v24, v30, v48, -v24
	v_mul_f16_sdwa v48, v28, v90 dst_sel:DWORD dst_unused:UNUSED_PAD src0_sel:WORD_1 src1_sel:DWORD
	s_waitcnt lgkmcnt(5)
	v_lshrrev_b32_e32 v91, 16, v69
	v_fma_f16 v48, v28, v41, v48
	v_mul_f16_sdwa v41, v28, v41 dst_sel:DWORD dst_unused:UNUSED_PAD src0_sel:WORD_1 src1_sel:DWORD
	v_fma_f16 v41, v28, v90, -v41
	v_mul_f16_sdwa v90, v29, v91 dst_sel:DWORD dst_unused:UNUSED_PAD src0_sel:WORD_1 src1_sel:DWORD
	s_waitcnt lgkmcnt(4)
	v_lshrrev_b32_e32 v92, 16, v71
	v_fma_f16 v90, v29, v69, v90
	v_mul_f16_sdwa v69, v29, v69 dst_sel:DWORD dst_unused:UNUSED_PAD src0_sel:WORD_1 src1_sel:DWORD
	v_fma_f16 v69, v29, v91, -v69
	v_mul_f16_sdwa v91, v30, v92 dst_sel:DWORD dst_unused:UNUSED_PAD src0_sel:WORD_1 src1_sel:DWORD
	v_lshrrev_b32_e32 v94, 16, v42
	v_fma_f16 v91, v30, v71, v91
	v_mul_f16_sdwa v71, v30, v71 dst_sel:DWORD dst_unused:UNUSED_PAD src0_sel:WORD_1 src1_sel:DWORD
	v_fma_f16 v71, v30, v92, -v71
	v_mul_f16_sdwa v92, v28, v94 dst_sel:DWORD dst_unused:UNUSED_PAD src0_sel:WORD_1 src1_sel:DWORD
	v_lshrrev_b32_e32 v95, 16, v70
	v_fma_f16 v92, v28, v42, v92
	v_mul_f16_sdwa v42, v28, v42 dst_sel:DWORD dst_unused:UNUSED_PAD src0_sel:WORD_1 src1_sel:DWORD
	v_fma_f16 v42, v28, v94, -v42
	v_mul_f16_sdwa v94, v29, v95 dst_sel:DWORD dst_unused:UNUSED_PAD src0_sel:WORD_1 src1_sel:DWORD
	;; [unrolled: 5-line block ×3, first 2 shown]
	s_waitcnt lgkmcnt(2)
	v_lshrrev_b32_e32 v98, 16, v82
	v_fma_f16 v95, v30, v72, v95
	v_mul_f16_sdwa v72, v30, v72 dst_sel:DWORD dst_unused:UNUSED_PAD src0_sel:WORD_1 src1_sel:DWORD
	v_fma_f16 v72, v30, v96, -v72
	v_mul_f16_sdwa v96, v28, v98 dst_sel:DWORD dst_unused:UNUSED_PAD src0_sel:WORD_1 src1_sel:DWORD
	s_waitcnt lgkmcnt(1)
	v_lshrrev_b32_e32 v99, 16, v84
	v_fma_f16 v96, v28, v82, v96
	v_mul_f16_sdwa v82, v28, v82 dst_sel:DWORD dst_unused:UNUSED_PAD src0_sel:WORD_1 src1_sel:DWORD
	v_fma_f16 v82, v28, v98, -v82
	v_mul_f16_sdwa v98, v29, v99 dst_sel:DWORD dst_unused:UNUSED_PAD src0_sel:WORD_1 src1_sel:DWORD
	;; [unrolled: 6-line block ×3, first 2 shown]
	v_lshrrev_b32_e32 v102, 16, v83
	v_fma_f16 v99, v30, v88, v99
	v_mul_f16_sdwa v88, v30, v88 dst_sel:DWORD dst_unused:UNUSED_PAD src0_sel:WORD_1 src1_sel:DWORD
	v_fma_f16 v88, v30, v100, -v88
	v_mul_f16_sdwa v100, v28, v102 dst_sel:DWORD dst_unused:UNUSED_PAD src0_sel:WORD_1 src1_sel:DWORD
	v_lshrrev_b32_e32 v103, 16, v85
	v_fma_f16 v100, v28, v83, v100
	v_mul_f16_sdwa v83, v28, v83 dst_sel:DWORD dst_unused:UNUSED_PAD src0_sel:WORD_1 src1_sel:DWORD
	v_fma_f16 v28, v28, v102, -v83
	v_mul_f16_sdwa v83, v29, v103 dst_sel:DWORD dst_unused:UNUSED_PAD src0_sel:WORD_1 src1_sel:DWORD
	v_lshrrev_b32_e32 v104, 16, v89
	v_fma_f16 v83, v29, v85, v83
	v_mul_f16_sdwa v85, v29, v85 dst_sel:DWORD dst_unused:UNUSED_PAD src0_sel:WORD_1 src1_sel:DWORD
	v_lshrrev_b32_e32 v0, 16, v1
	v_fma_f16 v29, v29, v103, -v85
	v_mul_f16_sdwa v85, v30, v104 dst_sel:DWORD dst_unused:UNUSED_PAD src0_sel:WORD_1 src1_sel:DWORD
	v_fma_f16 v85, v30, v89, v85
	v_mul_f16_sdwa v89, v30, v89 dst_sel:DWORD dst_unused:UNUSED_PAD src0_sel:WORD_1 src1_sel:DWORD
	v_sub_f16_e32 v27, v1, v27
	v_sub_f16_e32 v21, v0, v21
	;; [unrolled: 1-line block ×4, first 2 shown]
	v_lshrrev_b32_e32 v44, 16, v2
	v_fma_f16 v30, v30, v104, -v89
	v_fma_f16 v1, v1, 2.0, -v27
	v_fma_f16 v0, v0, 2.0, -v21
	;; [unrolled: 1-line block ×4, first 2 shown]
	v_sub_f16_e32 v89, v1, v89
	v_sub_f16_e32 v3, v0, v3
	v_add_f16_e32 v23, v27, v23
	v_sub_f16_e32 v40, v21, v40
	v_sub_f16_e32 v45, v2, v45
	v_sub_f16_e32 v22, v44, v22
	v_sub_f16_e32 v46, v43, v46
	v_sub_f16_e32 v24, v4, v24
	v_lshrrev_b32_e32 v86, 16, v25
	v_fma_f16 v1, v1, 2.0, -v89
	v_fma_f16 v0, v0, 2.0, -v3
	;; [unrolled: 1-line block ×8, first 2 shown]
	v_sub_f16_e32 v43, v2, v43
	v_sub_f16_e32 v4, v44, v4
	v_add_f16_e32 v24, v45, v24
	v_sub_f16_e32 v46, v22, v46
	v_sub_f16_e32 v90, v25, v90
	;; [unrolled: 1-line block ×5, first 2 shown]
	v_pack_b32_f16 v0, v1, v0
	v_pack_b32_f16 v1, v27, v21
	v_lshrrev_b32_e32 v93, 16, v26
	v_fma_f16 v2, v2, 2.0, -v43
	v_fma_f16 v44, v44, 2.0, -v4
	;; [unrolled: 1-line block ×8, first 2 shown]
	s_barrier
	ds_write2st64_b32 v75, v0, v1 offset1:1
	v_pack_b32_f16 v0, v89, v3
	v_pack_b32_f16 v1, v23, v40
	v_sub_f16_e32 v48, v25, v48
	v_sub_f16_e32 v41, v86, v41
	v_add_f16_e32 v71, v90, v71
	v_sub_f16_e32 v91, v69, v91
	v_sub_f16_e32 v94, v26, v94
	;; [unrolled: 1-line block ×5, first 2 shown]
	ds_write2st64_b32 v75, v0, v1 offset0:2 offset1:3
	v_pack_b32_f16 v0, v2, v44
	v_pack_b32_f16 v1, v45, v22
	v_lshrrev_b32_e32 v97, 16, v73
	v_fma_f16 v25, v25, 2.0, -v48
	v_fma_f16 v86, v86, 2.0, -v41
	;; [unrolled: 1-line block ×8, first 2 shown]
	ds_write2st64_b32 v77, v0, v1 offset1:1
	v_pack_b32_f16 v0, v43, v4
	v_pack_b32_f16 v1, v24, v46
	v_sub_f16_e32 v92, v26, v92
	v_sub_f16_e32 v42, v93, v42
	v_add_f16_e32 v72, v94, v72
	v_sub_f16_e32 v95, v70, v95
	v_sub_f16_e32 v98, v73, v98
	;; [unrolled: 1-line block ×5, first 2 shown]
	ds_write2st64_b32 v77, v0, v1 offset0:2 offset1:3
	v_pack_b32_f16 v0, v25, v86
	v_pack_b32_f16 v1, v90, v69
	v_lshrrev_b32_e32 v101, 16, v74
	v_fma_f16 v26, v26, 2.0, -v92
	v_fma_f16 v93, v93, 2.0, -v42
	;; [unrolled: 1-line block ×8, first 2 shown]
	ds_write2st64_b32 v78, v0, v1 offset1:1
	v_pack_b32_f16 v0, v48, v41
	v_pack_b32_f16 v1, v71, v91
	v_sub_f16_e32 v96, v73, v96
	v_sub_f16_e32 v82, v97, v82
	v_add_f16_e32 v88, v98, v88
	v_sub_f16_e32 v99, v84, v99
	v_sub_f16_e32 v83, v74, v83
	;; [unrolled: 1-line block ×5, first 2 shown]
	ds_write2st64_b32 v78, v0, v1 offset0:2 offset1:3
	v_pack_b32_f16 v0, v26, v93
	v_pack_b32_f16 v1, v94, v70
	v_fma_f16 v73, v73, 2.0, -v96
	v_fma_f16 v97, v97, 2.0, -v82
	;; [unrolled: 1-line block ×8, first 2 shown]
	ds_write2st64_b32 v79, v0, v1 offset1:1
	v_pack_b32_f16 v0, v92, v42
	v_pack_b32_f16 v1, v72, v95
	v_sub_f16_e32 v100, v74, v100
	v_sub_f16_e32 v28, v101, v28
	v_add_f16_e32 v30, v83, v30
	v_sub_f16_e32 v85, v29, v85
	ds_write2st64_b32 v79, v0, v1 offset0:2 offset1:3
	v_pack_b32_f16 v0, v73, v97
	v_pack_b32_f16 v1, v98, v84
	v_fma_f16 v74, v74, 2.0, -v100
	v_fma_f16 v101, v101, 2.0, -v28
	;; [unrolled: 1-line block ×4, first 2 shown]
	ds_write2st64_b32 v80, v0, v1 offset1:1
	v_pack_b32_f16 v0, v96, v82
	v_pack_b32_f16 v1, v88, v99
	ds_write2st64_b32 v80, v0, v1 offset0:2 offset1:3
	v_pack_b32_f16 v0, v74, v101
	v_pack_b32_f16 v1, v83, v29
	ds_write2st64_b32 v81, v0, v1 offset1:1
	v_pack_b32_f16 v0, v100, v28
	v_pack_b32_f16 v1, v30, v85
	ds_write2st64_b32 v81, v0, v1 offset0:2 offset1:3
	s_waitcnt lgkmcnt(0)
	s_barrier
	ds_read2st64_b32 v[3:4], v50 offset1:8
	ds_read2st64_b32 v[21:22], v50 offset0:32 offset1:40
	ds_read2st64_b32 v[23:24], v50 offset0:64 offset1:72
	ds_read2st64_b32 v[25:26], v50 offset0:96 offset1:104
	ds_read2st64_b32 v[27:28], v50 offset0:128 offset1:136
	ds_read2st64_b32 v[29:30], v50 offset0:160 offset1:168
	s_waitcnt lgkmcnt(4)
	v_lshrrev_b32_e32 v40, 16, v21
	v_mul_f16_sdwa v96, v5, v40 dst_sel:DWORD dst_unused:UNUSED_PAD src0_sel:WORD_1 src1_sel:DWORD
	s_waitcnt lgkmcnt(3)
	v_lshrrev_b32_e32 v43, 16, v23
	v_fma_f16 v96, v5, v21, v96
	v_mul_f16_sdwa v21, v5, v21 dst_sel:DWORD dst_unused:UNUSED_PAD src0_sel:WORD_1 src1_sel:DWORD
	v_fma_f16 v21, v5, v40, -v21
	v_mul_f16_sdwa v40, v6, v43 dst_sel:DWORD dst_unused:UNUSED_PAD src0_sel:WORD_1 src1_sel:DWORD
	s_waitcnt lgkmcnt(2)
	v_lshrrev_b32_e32 v44, 16, v25
	v_fma_f16 v40, v6, v23, v40
	v_mul_f16_sdwa v23, v6, v23 dst_sel:DWORD dst_unused:UNUSED_PAD src0_sel:WORD_1 src1_sel:DWORD
	v_fma_f16 v23, v6, v43, -v23
	;; [unrolled: 6-line block ×4, first 2 shown]
	v_mul_f16_sdwa v45, v76, v46 dst_sel:DWORD dst_unused:UNUSED_PAD src0_sel:WORD_1 src1_sel:DWORD
	v_lshrrev_b32_e32 v75, 16, v22
	v_fma_f16 v45, v76, v29, v45
	v_mul_f16_sdwa v29, v76, v29 dst_sel:DWORD dst_unused:UNUSED_PAD src0_sel:WORD_1 src1_sel:DWORD
	v_fma_f16 v29, v76, v46, -v29
	v_mul_f16_sdwa v46, v5, v75 dst_sel:DWORD dst_unused:UNUSED_PAD src0_sel:WORD_1 src1_sel:DWORD
	v_lshrrev_b32_e32 v79, 16, v24
	v_fma_f16 v46, v5, v22, v46
	v_mul_f16_sdwa v22, v5, v22 dst_sel:DWORD dst_unused:UNUSED_PAD src0_sel:WORD_1 src1_sel:DWORD
	v_fma_f16 v22, v5, v75, -v22
	;; [unrolled: 5-line block ×4, first 2 shown]
	v_mul_f16_sdwa v80, v8, v81 dst_sel:DWORD dst_unused:UNUSED_PAD src0_sel:WORD_1 src1_sel:DWORD
	v_lshrrev_b32_e32 v82, 16, v30
	v_fma_f16 v80, v8, v28, v80
	v_mul_f16_sdwa v28, v8, v28 dst_sel:DWORD dst_unused:UNUSED_PAD src0_sel:WORD_1 src1_sel:DWORD
	ds_read2st64_b32 v[1:2], v50 offset0:16 offset1:24
	ds_read2st64_b32 v[41:42], v50 offset0:48 offset1:56
	;; [unrolled: 1-line block ×6, first 2 shown]
	v_fma_f16 v28, v8, v81, -v28
	v_mul_f16_sdwa v81, v76, v82 dst_sel:DWORD dst_unused:UNUSED_PAD src0_sel:WORD_1 src1_sel:DWORD
	s_waitcnt lgkmcnt(4)
	v_lshrrev_b32_e32 v84, 16, v41
	v_fma_f16 v81, v76, v30, v81
	v_mul_f16_sdwa v30, v76, v30 dst_sel:DWORD dst_unused:UNUSED_PAD src0_sel:WORD_1 src1_sel:DWORD
	v_fma_f16 v30, v76, v82, -v30
	v_mul_f16_sdwa v82, v5, v84 dst_sel:DWORD dst_unused:UNUSED_PAD src0_sel:WORD_1 src1_sel:DWORD
	s_waitcnt lgkmcnt(3)
	v_lshrrev_b32_e32 v85, 16, v69
	v_fma_f16 v82, v5, v41, v82
	v_mul_f16_sdwa v41, v5, v41 dst_sel:DWORD dst_unused:UNUSED_PAD src0_sel:WORD_1 src1_sel:DWORD
	;; [unrolled: 6-line block ×5, first 2 shown]
	v_fma_f16 v73, v8, v88, -v73
	v_mul_f16_sdwa v88, v76, v89 dst_sel:DWORD dst_unused:UNUSED_PAD src0_sel:WORD_1 src1_sel:DWORD
	v_lshrrev_b32_e32 v91, 16, v42
	v_fma_f16 v88, v76, v77, v88
	v_mul_f16_sdwa v77, v76, v77 dst_sel:DWORD dst_unused:UNUSED_PAD src0_sel:WORD_1 src1_sel:DWORD
	v_fma_f16 v77, v76, v89, -v77
	v_mul_f16_sdwa v89, v5, v91 dst_sel:DWORD dst_unused:UNUSED_PAD src0_sel:WORD_1 src1_sel:DWORD
	v_lshrrev_b32_e32 v92, 16, v70
	v_fma_f16 v89, v5, v42, v89
	v_mul_f16_sdwa v42, v5, v42 dst_sel:DWORD dst_unused:UNUSED_PAD src0_sel:WORD_1 src1_sel:DWORD
	;; [unrolled: 5-line block ×5, first 2 shown]
	v_fma_f16 v8, v8, v94, -v74
	v_mul_f16_sdwa v74, v76, v95 dst_sel:DWORD dst_unused:UNUSED_PAD src0_sel:WORD_1 src1_sel:DWORD
	v_fma_f16 v74, v76, v78, v74
	v_mul_f16_sdwa v78, v76, v78 dst_sel:DWORD dst_unused:UNUSED_PAD src0_sel:WORD_1 src1_sel:DWORD
	v_add_f16_e32 v91, v40, v44
	v_lshrrev_b32_e32 v0, 16, v3
	v_fma_f16 v76, v76, v95, -v78
	v_add_f16_e32 v78, v3, v40
	v_fma_f16 v3, v91, -0.5, v3
	v_sub_f16_e32 v91, v23, v27
	v_fma_f16 v92, v91, s14, v3
	v_fma_f16 v3, v91, s13, v3
	v_add_f16_e32 v91, v0, v23
	v_add_f16_e32 v23, v23, v27
	v_fma_f16 v0, v23, -0.5, v0
	v_sub_f16_e32 v23, v40, v44
	v_add_f16_e32 v40, v43, v45
	v_add_f16_e32 v78, v78, v44
	v_fma_f16 v40, v40, -0.5, v96
	v_sub_f16_e32 v44, v25, v29
	v_fma_f16 v93, v44, s14, v40
	v_fma_f16 v40, v44, s13, v40
	v_add_f16_e32 v44, v21, v25
	v_add_f16_e32 v25, v25, v29
	v_fma_f16 v21, v25, -0.5, v21
	v_sub_f16_e32 v25, v43, v45
	v_add_f16_e32 v44, v44, v29
	v_fma_f16 v29, v25, s13, v21
	v_add_f16_e32 v91, v91, v27
	v_fma_f16 v27, v23, s13, v0
	v_fma_f16 v0, v23, s14, v0
	v_add_f16_e32 v23, v96, v43
	v_fma_f16 v21, v25, s14, v21
	v_mul_f16_e32 v43, 0xbaee, v29
	v_mul_f16_e32 v29, 0.5, v29
	v_mul_f16_e32 v94, 0xbaee, v21
	v_fma_f16 v29, v93, s13, v29
	v_mul_f16_e32 v21, -0.5, v21
	v_fma_f16 v43, v93, 0.5, v43
	v_add_f16_e32 v93, v27, v29
	v_fma_f16 v21, v40, s13, v21
	v_sub_f16_e32 v27, v27, v29
	v_add_f16_e32 v29, v75, v80
	v_lshrrev_b32_e32 v48, 16, v4
	v_add_f16_e32 v23, v23, v45
	v_fma_f16 v94, v40, -0.5, v94
	v_add_f16_e32 v40, v0, v21
	v_sub_f16_e32 v0, v0, v21
	v_add_f16_e32 v21, v4, v75
	v_fma_f16 v4, v29, -0.5, v4
	v_sub_f16_e32 v29, v24, v28
	v_add_f16_e32 v25, v78, v23
	v_sub_f16_e32 v23, v78, v23
	v_fma_f16 v78, v29, s14, v4
	v_fma_f16 v4, v29, s13, v4
	v_add_f16_e32 v29, v48, v24
	v_add_f16_e32 v24, v24, v28
	;; [unrolled: 1-line block ×3, first 2 shown]
	v_fma_f16 v24, v24, -0.5, v48
	v_sub_f16_e32 v28, v75, v80
	v_add_f16_e32 v75, v79, v81
	v_fma_f16 v48, v28, s13, v24
	v_fma_f16 v24, v28, s14, v24
	v_add_f16_e32 v28, v46, v79
	v_fma_f16 v46, v75, -0.5, v46
	v_sub_f16_e32 v75, v26, v30
	v_add_f16_e32 v21, v21, v80
	v_fma_f16 v80, v75, s14, v46
	v_fma_f16 v46, v75, s13, v46
	v_add_f16_e32 v75, v22, v26
	v_add_f16_e32 v26, v26, v30
	v_fma_f16 v22, v26, -0.5, v22
	v_sub_f16_e32 v26, v79, v81
	v_add_f16_e32 v75, v75, v30
	v_fma_f16 v30, v26, s13, v22
	v_fma_f16 v22, v26, s14, v22
	v_mul_f16_e32 v79, 0xbaee, v30
	v_mul_f16_e32 v30, 0.5, v30
	v_add_f16_e32 v96, v91, v44
	v_sub_f16_e32 v44, v91, v44
	v_mul_f16_e32 v91, 0xbaee, v22
	v_fma_f16 v30, v80, s13, v30
	v_mul_f16_e32 v22, -0.5, v22
	v_fma_f16 v79, v80, 0.5, v79
	v_add_f16_e32 v80, v48, v30
	v_fma_f16 v22, v46, s13, v22
	v_sub_f16_e32 v30, v48, v30
	v_add_f16_e32 v48, v84, v86
	v_lshrrev_b32_e32 v83, 16, v1
	v_fma_f16 v91, v46, -0.5, v91
	v_add_f16_e32 v46, v24, v22
	v_sub_f16_e32 v22, v24, v22
	v_add_f16_e32 v24, v1, v84
	v_fma_f16 v1, v48, -0.5, v1
	v_sub_f16_e32 v48, v69, v73
	v_add_f16_e32 v95, v3, v94
	v_sub_f16_e32 v3, v3, v94
	v_add_f16_e32 v28, v28, v81
	v_add_f16_e32 v94, v29, v75
	v_sub_f16_e32 v29, v29, v75
	v_fma_f16 v75, v48, s14, v1
	v_fma_f16 v1, v48, s13, v1
	v_add_f16_e32 v48, v83, v69
	v_add_f16_e32 v69, v69, v73
	;; [unrolled: 1-line block ×4, first 2 shown]
	v_sub_f16_e32 v21, v21, v28
	v_sub_f16_e32 v28, v78, v79
	v_add_f16_e32 v48, v48, v73
	v_fma_f16 v69, v69, -0.5, v83
	v_sub_f16_e32 v73, v84, v86
	v_add_f16_e32 v79, v85, v88
	v_fma_f16 v78, v73, s13, v69
	v_fma_f16 v69, v73, s14, v69
	v_add_f16_e32 v73, v82, v85
	v_fma_f16 v79, v79, -0.5, v82
	v_sub_f16_e32 v82, v71, v77
	v_fma_f16 v83, v82, s14, v79
	v_fma_f16 v79, v82, s13, v79
	v_add_f16_e32 v82, v41, v71
	v_add_f16_e32 v71, v71, v77
	v_fma_f16 v41, v71, -0.5, v41
	v_sub_f16_e32 v71, v85, v88
	v_add_f16_e32 v82, v82, v77
	v_fma_f16 v77, v71, s13, v41
	v_fma_f16 v41, v71, s14, v41
	v_mul_f16_e32 v84, 0xbaee, v77
	v_mul_f16_e32 v77, 0.5, v77
	v_add_f16_e32 v24, v24, v86
	v_add_f16_e32 v73, v73, v88
	v_fma_f16 v84, v83, 0.5, v84
	v_mul_f16_e32 v86, 0xbaee, v41
	v_fma_f16 v77, v83, s13, v77
	v_mul_f16_e32 v41, -0.5, v41
	v_add_f16_e32 v71, v24, v73
	v_add_f16_e32 v85, v75, v84
	;; [unrolled: 1-line block ×3, first 2 shown]
	v_fma_f16 v41, v79, s13, v41
	v_sub_f16_e32 v24, v24, v73
	v_sub_f16_e32 v73, v75, v84
	;; [unrolled: 1-line block ×3, first 2 shown]
	v_add_f16_e32 v77, v42, v72
	v_lshrrev_b32_e32 v90, 16, v2
	v_fma_f16 v86, v79, -0.5, v86
	v_add_f16_e32 v79, v69, v41
	v_sub_f16_e32 v41, v69, v41
	v_add_f16_e32 v69, v2, v42
	v_fma_f16 v2, v77, -0.5, v2
	v_sub_f16_e32 v77, v6, v8
	v_fma_f16 v78, v77, s14, v2
	v_fma_f16 v2, v77, s13, v2
	v_add_f16_e32 v77, v90, v6
	v_add_f16_e32 v69, v69, v72
	;; [unrolled: 1-line block ×4, first 2 shown]
	v_sub_f16_e32 v8, v42, v72
	v_add_f16_e32 v72, v70, v74
	v_add_f16_e32 v45, v92, v43
	v_sub_f16_e32 v43, v92, v43
	v_add_f16_e32 v92, v4, v91
	v_sub_f16_e32 v4, v4, v91
	;; [unrolled: 2-line block ×3, first 2 shown]
	v_fma_f16 v72, v72, -0.5, v89
	v_sub_f16_e32 v82, v7, v76
	v_fma_f16 v84, v82, s14, v72
	v_fma_f16 v72, v82, s13, v72
	v_add_f16_e32 v82, v5, v7
	v_add_f16_e32 v7, v7, v76
	v_fma_f16 v6, v6, -0.5, v90
	v_fma_f16 v5, v7, -0.5, v5
	v_sub_f16_e32 v7, v70, v74
	v_fma_f16 v42, v8, s13, v6
	v_fma_f16 v6, v8, s14, v6
	v_add_f16_e32 v8, v89, v70
	v_fma_f16 v70, v7, s13, v5
	v_fma_f16 v5, v7, s14, v5
	v_add_f16_e32 v88, v1, v86
	v_sub_f16_e32 v1, v1, v86
	v_mul_f16_e32 v86, 0xbaee, v5
	v_mul_f16_e32 v5, -0.5, v5
	v_fma_f16 v5, v72, s13, v5
	v_fma_f16 v86, v72, -0.5, v86
	v_add_f16_e32 v72, v6, v5
	v_sub_f16_e32 v5, v6, v5
	v_pack_b32_f16 v6, v25, v96
	v_pack_b32_f16 v25, v45, v93
	s_barrier
	ds_write2st64_b32 v87, v6, v25 offset1:4
	v_pack_b32_f16 v6, v95, v40
	v_pack_b32_f16 v23, v23, v44
	ds_write2st64_b32 v87, v6, v23 offset0:8 offset1:12
	v_pack_b32_f16 v6, v43, v27
	v_pack_b32_f16 v0, v3, v0
	ds_write2st64_b32 v87, v6, v0 offset0:16 offset1:20
	v_pack_b32_f16 v0, v26, v94
	v_pack_b32_f16 v3, v81, v80
	ds_write2st64_b32 v105, v0, v3 offset1:4
	v_pack_b32_f16 v0, v92, v46
	v_pack_b32_f16 v3, v21, v29
	ds_write2st64_b32 v105, v0, v3 offset0:8 offset1:12
	v_pack_b32_f16 v0, v28, v30
	v_pack_b32_f16 v3, v4, v22
	v_add_f16_e32 v8, v8, v74
	v_mul_f16_e32 v74, 0xbaee, v70
	v_mul_f16_e32 v70, 0.5, v70
	ds_write2st64_b32 v105, v0, v3 offset0:16 offset1:20
	v_pack_b32_f16 v0, v71, v91
	v_pack_b32_f16 v3, v85, v83
	v_add_f16_e32 v82, v82, v76
	v_fma_f16 v74, v84, 0.5, v74
	v_fma_f16 v70, v84, s13, v70
	ds_write2st64_b32 v106, v0, v3 offset1:4
	v_pack_b32_f16 v0, v88, v79
	v_pack_b32_f16 v3, v24, v48
	v_add_f16_e32 v7, v69, v8
	v_add_f16_e32 v76, v78, v74
	;; [unrolled: 1-line block ×4, first 2 shown]
	ds_write2st64_b32 v106, v0, v3 offset0:8 offset1:12
	v_pack_b32_f16 v0, v73, v75
	v_pack_b32_f16 v1, v1, v41
	v_add_f16_e32 v89, v2, v86
	v_sub_f16_e32 v8, v69, v8
	v_sub_f16_e32 v69, v78, v74
	;; [unrolled: 1-line block ×3, first 2 shown]
	ds_write2st64_b32 v106, v0, v1 offset0:16 offset1:20
	v_pack_b32_f16 v0, v7, v90
	v_pack_b32_f16 v1, v76, v84
	v_sub_f16_e32 v2, v2, v86
	v_sub_f16_e32 v42, v42, v70
	ds_write2st64_b32 v107, v0, v1 offset1:4
	v_pack_b32_f16 v0, v89, v72
	v_pack_b32_f16 v1, v8, v74
	ds_write2st64_b32 v107, v0, v1 offset0:8 offset1:12
	v_pack_b32_f16 v0, v69, v42
	v_pack_b32_f16 v1, v2, v5
	ds_write2st64_b32 v107, v0, v1 offset0:16 offset1:20
	s_waitcnt lgkmcnt(0)
	s_barrier
	ds_read2st64_b32 v[3:4], v50 offset1:8
	ds_read2st64_b32 v[1:2], v50 offset0:16 offset1:24
	ds_read2st64_b32 v[5:6], v50 offset0:48 offset1:56
	;; [unrolled: 1-line block ×7, first 2 shown]
	s_waitcnt lgkmcnt(6)
	v_lshrrev_b32_e32 v40, 16, v2
	v_mul_f16_sdwa v90, v9, v40 dst_sel:DWORD dst_unused:UNUSED_PAD src0_sel:WORD_1 src1_sel:DWORD
	s_waitcnt lgkmcnt(5)
	v_lshrrev_b32_e32 v43, 16, v5
	v_fma_f16 v90, v9, v2, v90
	v_mul_f16_sdwa v2, v9, v2 dst_sel:DWORD dst_unused:UNUSED_PAD src0_sel:WORD_1 src1_sel:DWORD
	v_fma_f16 v2, v9, v40, -v2
	v_mul_f16_sdwa v9, v10, v43 dst_sel:DWORD dst_unused:UNUSED_PAD src0_sel:WORD_1 src1_sel:DWORD
	s_waitcnt lgkmcnt(4)
	v_lshrrev_b32_e32 v44, 16, v8
	v_fma_f16 v9, v10, v5, v9
	v_mul_f16_sdwa v5, v10, v5 dst_sel:DWORD dst_unused:UNUSED_PAD src0_sel:WORD_1 src1_sel:DWORD
	v_fma_f16 v5, v10, v43, -v5
	v_mul_f16_sdwa v10, v11, v44 dst_sel:DWORD dst_unused:UNUSED_PAD src0_sel:WORD_1 src1_sel:DWORD
	s_waitcnt lgkmcnt(3)
	v_lshrrev_b32_e32 v45, 16, v21
	v_fma_f16 v10, v11, v8, v10
	v_mul_f16_sdwa v8, v11, v8 dst_sel:DWORD dst_unused:UNUSED_PAD src0_sel:WORD_1 src1_sel:DWORD
	v_fma_f16 v8, v11, v44, -v8
	v_mul_f16_sdwa v11, v12, v45 dst_sel:DWORD dst_unused:UNUSED_PAD src0_sel:WORD_1 src1_sel:DWORD
	s_waitcnt lgkmcnt(2)
	v_lshrrev_b32_e32 v46, 16, v24
	v_fma_f16 v11, v12, v21, v11
	v_mul_f16_sdwa v21, v12, v21 dst_sel:DWORD dst_unused:UNUSED_PAD src0_sel:WORD_1 src1_sel:DWORD
	ds_read2st64_b32 v[29:30], v50 offset0:32 offset1:40
	v_fma_f16 v12, v12, v45, -v21
	v_mul_f16_sdwa v21, v34, v46 dst_sel:DWORD dst_unused:UNUSED_PAD src0_sel:WORD_1 src1_sel:DWORD
	s_waitcnt lgkmcnt(2)
	v_lshrrev_b32_e32 v48, 16, v25
	v_fma_f16 v21, v34, v24, v21
	v_mul_f16_sdwa v24, v34, v24 dst_sel:DWORD dst_unused:UNUSED_PAD src0_sel:WORD_1 src1_sel:DWORD
	v_fma_f16 v24, v34, v46, -v24
	v_mul_f16_sdwa v34, v35, v48 dst_sel:DWORD dst_unused:UNUSED_PAD src0_sel:WORD_1 src1_sel:DWORD
	s_waitcnt lgkmcnt(1)
	v_lshrrev_b32_e32 v73, 16, v28
	v_fma_f16 v34, v35, v25, v34
	v_mul_f16_sdwa v25, v35, v25 dst_sel:DWORD dst_unused:UNUSED_PAD src0_sel:WORD_1 src1_sel:DWORD
	ds_read2st64_b32 v[41:42], v50 offset0:80 offset1:88
	v_fma_f16 v25, v35, v48, -v25
	v_mul_f16_sdwa v35, v36, v73 dst_sel:DWORD dst_unused:UNUSED_PAD src0_sel:WORD_1 src1_sel:DWORD
	s_waitcnt lgkmcnt(1)
	v_lshrrev_b32_e32 v75, 16, v29
	v_fma_f16 v35, v36, v28, v35
	v_mul_f16_sdwa v28, v36, v28 dst_sel:DWORD dst_unused:UNUSED_PAD src0_sel:WORD_1 src1_sel:DWORD
	v_fma_f16 v28, v36, v73, -v28
	v_mul_f16_sdwa v36, v13, v75 dst_sel:DWORD dst_unused:UNUSED_PAD src0_sel:WORD_1 src1_sel:DWORD
	ds_read2st64_b32 v[69:70], v50 offset0:128 offset1:136
	v_lshrrev_b32_e32 v76, 16, v6
	v_fma_f16 v36, v13, v29, v36
	v_mul_f16_sdwa v29, v13, v29 dst_sel:DWORD dst_unused:UNUSED_PAD src0_sel:WORD_1 src1_sel:DWORD
	v_fma_f16 v13, v13, v75, -v29
	v_mul_f16_sdwa v29, v14, v76 dst_sel:DWORD dst_unused:UNUSED_PAD src0_sel:WORD_1 src1_sel:DWORD
	s_waitcnt lgkmcnt(1)
	v_lshrrev_b32_e32 v77, 16, v41
	v_fma_f16 v29, v14, v6, v29
	v_mul_f16_sdwa v6, v14, v6 dst_sel:DWORD dst_unused:UNUSED_PAD src0_sel:WORD_1 src1_sel:DWORD
	ds_read2st64_b32 v[71:72], v50 offset0:176 offset1:184
	v_lshrrev_b32_e32 v78, 16, v22
	v_fma_f16 v6, v14, v76, -v6
	v_mul_f16_sdwa v14, v15, v77 dst_sel:DWORD dst_unused:UNUSED_PAD src0_sel:WORD_1 src1_sel:DWORD
	v_mul_f16_sdwa v40, v15, v41 dst_sel:DWORD dst_unused:UNUSED_PAD src0_sel:WORD_1 src1_sel:DWORD
	v_fma_f16 v14, v15, v41, v14
	v_fma_f16 v15, v15, v77, -v40
	v_mul_f16_sdwa v40, v16, v78 dst_sel:DWORD dst_unused:UNUSED_PAD src0_sel:WORD_1 src1_sel:DWORD
	s_waitcnt lgkmcnt(1)
	v_lshrrev_b32_e32 v79, 16, v69
	v_fma_f16 v40, v16, v22, v40
	v_mul_f16_sdwa v22, v16, v22 dst_sel:DWORD dst_unused:UNUSED_PAD src0_sel:WORD_1 src1_sel:DWORD
	v_lshrrev_b32_e32 v80, 16, v26
	v_fma_f16 v16, v16, v78, -v22
	v_mul_f16_sdwa v22, v31, v79 dst_sel:DWORD dst_unused:UNUSED_PAD src0_sel:WORD_1 src1_sel:DWORD
	v_mul_f16_sdwa v41, v31, v69 dst_sel:DWORD dst_unused:UNUSED_PAD src0_sel:WORD_1 src1_sel:DWORD
	v_fma_f16 v22, v31, v69, v22
	v_fma_f16 v31, v31, v79, -v41
	v_mul_f16_sdwa v41, v32, v80 dst_sel:DWORD dst_unused:UNUSED_PAD src0_sel:WORD_1 src1_sel:DWORD
	s_waitcnt lgkmcnt(0)
	v_lshrrev_b32_e32 v81, 16, v71
	v_fma_f16 v41, v32, v26, v41
	v_mul_f16_sdwa v26, v32, v26 dst_sel:DWORD dst_unused:UNUSED_PAD src0_sel:WORD_1 src1_sel:DWORD
	v_lshrrev_b32_e32 v83, 16, v30
	v_fma_f16 v26, v32, v80, -v26
	v_mul_f16_sdwa v32, v33, v81 dst_sel:DWORD dst_unused:UNUSED_PAD src0_sel:WORD_1 src1_sel:DWORD
	v_mul_f16_sdwa v43, v33, v71 dst_sel:DWORD dst_unused:UNUSED_PAD src0_sel:WORD_1 src1_sel:DWORD
	v_fma_f16 v32, v33, v71, v32
	v_fma_f16 v33, v33, v81, -v43
	v_mul_f16_sdwa v43, v17, v83 dst_sel:DWORD dst_unused:UNUSED_PAD src0_sel:WORD_1 src1_sel:DWORD
	v_lshrrev_b32_e32 v84, 16, v7
	v_fma_f16 v43, v17, v30, v43
	v_mul_f16_sdwa v30, v17, v30 dst_sel:DWORD dst_unused:UNUSED_PAD src0_sel:WORD_1 src1_sel:DWORD
	v_fma_f16 v17, v17, v83, -v30
	v_mul_f16_sdwa v30, v18, v84 dst_sel:DWORD dst_unused:UNUSED_PAD src0_sel:WORD_1 src1_sel:DWORD
	v_lshrrev_b32_e32 v85, 16, v42
	v_fma_f16 v30, v18, v7, v30
	v_mul_f16_sdwa v7, v18, v7 dst_sel:DWORD dst_unused:UNUSED_PAD src0_sel:WORD_1 src1_sel:DWORD
	;; [unrolled: 5-line block ×4, first 2 shown]
	v_lshrrev_b32_e32 v88, 16, v27
	v_fma_f16 v20, v20, v86, -v23
	v_mul_f16_sdwa v23, v37, v87 dst_sel:DWORD dst_unused:UNUSED_PAD src0_sel:WORD_1 src1_sel:DWORD
	v_mul_f16_sdwa v44, v37, v70 dst_sel:DWORD dst_unused:UNUSED_PAD src0_sel:WORD_1 src1_sel:DWORD
	v_lshrrev_b32_e32 v0, 16, v3
	v_fma_f16 v23, v37, v70, v23
	v_fma_f16 v37, v37, v87, -v44
	v_mul_f16_sdwa v44, v38, v88 dst_sel:DWORD dst_unused:UNUSED_PAD src0_sel:WORD_1 src1_sel:DWORD
	v_lshrrev_b32_e32 v89, 16, v72
	v_fma_f16 v44, v38, v27, v44
	v_mul_f16_sdwa v27, v38, v27 dst_sel:DWORD dst_unused:UNUSED_PAD src0_sel:WORD_1 src1_sel:DWORD
	v_sub_f16_e32 v11, v3, v11
	v_sub_f16_e32 v12, v0, v12
	;; [unrolled: 1-line block ×8, first 2 shown]
	v_fma_f16 v27, v38, v88, -v27
	v_mul_f16_sdwa v38, v39, v89 dst_sel:DWORD dst_unused:UNUSED_PAD src0_sel:WORD_1 src1_sel:DWORD
	v_mul_f16_sdwa v45, v39, v72 dst_sel:DWORD dst_unused:UNUSED_PAD src0_sel:WORD_1 src1_sel:DWORD
	v_fma_f16 v9, v9, 2.0, -v34
	v_fma_f16 v5, v5, 2.0, -v25
	;; [unrolled: 1-line block ×4, first 2 shown]
	v_add_f16_e32 v25, v11, v25
	v_sub_f16_e32 v34, v12, v34
	v_add_f16_e32 v28, v21, v28
	v_sub_f16_e32 v35, v24, v35
	v_lshrrev_b32_e32 v74, 16, v4
	v_fma_f16 v38, v39, v72, v38
	v_fma_f16 v39, v39, v89, -v45
	v_fma_f16 v3, v3, 2.0, -v11
	v_fma_f16 v0, v0, 2.0, -v12
	;; [unrolled: 1-line block ×8, first 2 shown]
	v_sub_f16_e32 v40, v4, v40
	v_sub_f16_e32 v26, v6, v26
	v_sub_f16_e32 v22, v36, v22
	v_sub_f16_e32 v33, v15, v33
	v_fma_f16 v46, v21, s0, v11
	v_fma_f16 v48, v24, s0, v12
	v_sub_f16_e32 v16, v74, v16
	v_sub_f16_e32 v41, v29, v41
	v_fma_f16 v6, v6, 2.0, -v26
	v_sub_f16_e32 v31, v13, v31
	v_sub_f16_e32 v32, v14, v32
	v_fma_f16 v15, v15, 2.0, -v33
	v_add_f16_e32 v26, v40, v26
	v_add_f16_e32 v33, v22, v33
	v_fma_f16 v24, v24, s1, v46
	v_fma_f16 v21, v21, s0, v48
	;; [unrolled: 1-line block ×4, first 2 shown]
	v_fma_f16 v4, v4, 2.0, -v40
	v_fma_f16 v29, v29, 2.0, -v41
	;; [unrolled: 1-line block ×4, first 2 shown]
	v_sub_f16_e32 v41, v16, v41
	v_fma_f16 v40, v40, 2.0, -v26
	v_sub_f16_e32 v32, v31, v32
	v_fma_f16 v22, v22, 2.0, -v33
	v_lshrrev_b32_e32 v82, 16, v1
	v_fma_f16 v35, v35, s1, v46
	v_fma_f16 v28, v28, s0, v48
	v_fma_f16 v46, v74, 2.0, -v16
	v_fma_f16 v13, v13, 2.0, -v31
	;; [unrolled: 1-line block ×4, first 2 shown]
	v_fma_f16 v48, v22, s0, v40
	v_fma_f16 v69, v31, s0, v16
	;; [unrolled: 1-line block ×4, first 2 shown]
	v_sub_f16_e32 v42, v1, v42
	v_sub_f16_e32 v20, v82, v20
	;; [unrolled: 1-line block ×8, first 2 shown]
	v_fma_f16 v22, v22, s0, v69
	v_fma_f16 v69, v32, s1, v41
	;; [unrolled: 1-line block ×3, first 2 shown]
	v_fma_f16 v1, v1, 2.0, -v42
	v_fma_f16 v48, v82, 2.0, -v20
	v_fma_f16 v30, v30, 2.0, -v44
	v_fma_f16 v7, v7, 2.0, -v27
	v_fma_f16 v43, v43, 2.0, -v23
	v_fma_f16 v17, v17, 2.0, -v37
	v_fma_f16 v18, v18, 2.0, -v38
	v_fma_f16 v19, v19, 2.0, -v39
	v_sub_f16_e32 v9, v3, v9
	v_sub_f16_e32 v5, v0, v5
	;; [unrolled: 1-line block ×10, first 2 shown]
	v_add_f16_e32 v27, v42, v27
	v_sub_f16_e32 v44, v20, v44
	v_sub_f16_e32 v18, v43, v18
	;; [unrolled: 1-line block ×3, first 2 shown]
	v_add_f16_e32 v39, v23, v39
	v_sub_f16_e32 v38, v37, v38
	v_fma_f16 v3, v3, 2.0, -v9
	v_fma_f16 v0, v0, 2.0, -v5
	;; [unrolled: 1-line block ×16, first 2 shown]
	v_sub_f16_e32 v45, v3, v45
	v_sub_f16_e32 v2, v0, v2
	;; [unrolled: 1-line block ×4, first 2 shown]
	v_fma_f16 v33, v33, s0, v69
	v_sub_f16_e32 v43, v1, v43
	v_sub_f16_e32 v17, v48, v17
	v_fma_f16 v69, v23, s0, v42
	v_fma_f16 v70, v37, s0, v20
	v_fma_f16 v3, v3, 2.0, -v45
	v_fma_f16 v0, v0, 2.0, -v2
	v_fma_f16 v11, v11, 2.0, -v24
	v_fma_f16 v12, v12, 2.0, -v21
	v_fma_f16 v4, v4, 2.0, -v36
	v_fma_f16 v46, v46, 2.0, -v13
	v_fma_f16 v1, v1, 2.0, -v43
	v_fma_f16 v48, v48, 2.0, -v17
	v_fma_f16 v37, v37, s1, v69
	v_fma_f16 v23, v23, s0, v70
	v_add_f16_e32 v8, v9, v8
	v_sub_f16_e32 v10, v5, v10
	v_fma_f16 v40, v40, 2.0, -v31
	v_fma_f16 v16, v16, 2.0, -v22
	v_add_f16_e32 v15, v29, v15
	v_sub_f16_e32 v14, v6, v14
	v_fma_f16 v42, v42, 2.0, -v37
	v_fma_f16 v20, v20, 2.0, -v23
	v_add_f16_e32 v19, v30, v19
	v_sub_f16_e32 v18, v7, v18
	v_fma_f16 v69, v39, s1, v27
	v_fma_f16 v70, v38, s1, v44
	v_pack_b32_f16 v0, v3, v0
	v_pack_b32_f16 v3, v11, v12
	;; [unrolled: 1-line block ×4, first 2 shown]
	v_fma_f16 v9, v9, 2.0, -v8
	v_fma_f16 v5, v5, 2.0, -v10
	;; [unrolled: 1-line block ×8, first 2 shown]
	v_fma_f16 v38, v38, s1, v69
	v_fma_f16 v39, v39, s0, v70
	ds_write2st64_b32 v50, v0, v4 offset1:8
	v_pack_b32_f16 v0, v40, v16
	ds_write2st64_b32 v50, v1, v3 offset0:16 offset1:24
	v_pack_b32_f16 v1, v42, v20
	v_fma_f16 v26, v26, 2.0, -v32
	v_fma_f16 v41, v41, 2.0, -v33
	;; [unrolled: 1-line block ×4, first 2 shown]
	v_pack_b32_f16 v5, v9, v5
	v_pack_b32_f16 v9, v25, v34
	v_pack_b32_f16 v4, v29, v6
	ds_write2st64_b32 v50, v0, v1 offset0:32 offset1:40
	v_pack_b32_f16 v0, v30, v7
	ds_write2st64_b32 v50, v5, v4 offset0:48 offset1:56
	v_pack_b32_f16 v4, v26, v41
	ds_write2st64_b32 v50, v0, v9 offset0:64 offset1:72
	v_pack_b32_f16 v0, v27, v44
	v_pack_b32_f16 v2, v45, v2
	v_pack_b32_f16 v11, v24, v21
	v_pack_b32_f16 v5, v36, v13
	ds_write2st64_b32 v50, v4, v0 offset0:80 offset1:88
	v_pack_b32_f16 v0, v43, v17
	ds_write2st64_b32 v50, v2, v5 offset0:96 offset1:104
	v_pack_b32_f16 v2, v31, v22
	ds_write2st64_b32 v50, v0, v11 offset0:112 offset1:120
	v_pack_b32_f16 v0, v37, v23
	;; [unrolled: 9-line block ×3, first 2 shown]
	ds_write2st64_b32 v50, v5, v0 offset0:176 offset1:184
	s_waitcnt lgkmcnt(0)
	s_barrier
	ds_read2st64_b32 v[5:6], v50 offset1:8
	buffer_load_dword v7, off, s[20:23], 0 offset:20 ; 4-byte Folded Reload
	buffer_load_dword v8, off, s[20:23], 0 offset:24 ; 4-byte Folded Reload
	v_mov_b32_e32 v13, 0x7c00
	s_waitcnt lgkmcnt(0)
	v_lshrrev_b32_e32 v0, 16, v5
	v_mul_f16_sdwa v1, v68, v0 dst_sel:DWORD dst_unused:UNUSED_PAD src0_sel:WORD_1 src1_sel:DWORD
	v_fma_f16 v1, v68, v5, v1
	v_cvt_f32_f16_e32 v1, v1
	v_cvt_f64_f32_e32 v[1:2], v1
	v_mul_f64 v[1:2], v[1:2], s[2:3]
	v_and_or_b32 v1, v2, s6, v1
	v_cmp_ne_u32_e32 vcc, 0, v1
	v_cndmask_b32_e64 v1, 0, 1, vcc
	s_waitcnt vmcnt(1)
	v_mad_u64_u32 v[3:4], s[0:1], s10, v7, 0
	s_movk_i32 s10, 0x40f
	s_waitcnt vmcnt(0)
	v_mad_u64_u32 v[7:8], s[0:1], s11, v7, v[4:5]
	v_bfe_u32 v8, v2, 20, 11
	v_sub_u32_e32 v9, 0x3f1, v8
	v_mov_b32_e32 v4, v7
	v_lshrrev_b32_e32 v7, 8, v2
	v_and_or_b32 v1, v7, s7, v1
	v_or_b32_e32 v7, 0x1000, v1
	v_med3_i32 v9, v9, 0, 13
	v_lshrrev_b32_e32 v10, v9, v7
	v_lshlrev_b32_e32 v9, v9, v10
	v_cmp_ne_u32_e32 vcc, v9, v7
	v_cndmask_b32_e64 v7, 0, 1, vcc
	v_add_u32_e32 v9, 0xfffffc10, v8
	v_mul_f16_sdwa v5, v68, v5 dst_sel:DWORD dst_unused:UNUSED_PAD src0_sel:WORD_1 src1_sel:DWORD
	v_or_b32_e32 v7, v10, v7
	v_lshl_or_b32 v8, v9, 12, v1
	v_cmp_gt_i32_e32 vcc, 1, v9
	v_fma_f16 v0, v68, v0, -v5
	v_cndmask_b32_e32 v7, v8, v7, vcc
	v_cvt_f32_f16_e32 v0, v0
	v_and_b32_e32 v8, 7, v7
	v_cmp_lt_i32_e32 vcc, 5, v8
	v_cmp_eq_u32_e64 s[0:1], 3, v8
	v_lshrrev_b32_e32 v7, 2, v7
	s_or_b64 vcc, s[0:1], vcc
	v_addc_co_u32_e32 v5, vcc, 0, v7, vcc
	v_cvt_f64_f32_e32 v[7:8], v0
	v_cmp_gt_i32_e32 vcc, 31, v9
	v_cndmask_b32_e32 v0, v13, v5, vcc
	v_cmp_ne_u32_e32 vcc, 0, v1
	v_mul_f64 v[7:8], v[7:8], s[2:3]
	v_cndmask_b32_e64 v1, 0, 1, vcc
	v_lshl_or_b32 v1, v1, 9, v13
	v_cmp_eq_u32_e32 vcc, s10, v9
	v_cndmask_b32_e32 v0, v0, v1, vcc
	v_lshrrev_b32_e32 v1, 16, v2
	v_and_or_b32 v0, v1, s12, v0
	v_lshlrev_b64 v[3:4], 2, v[3:4]
	v_and_or_b32 v1, v8, s6, v7
	v_cmp_ne_u32_e32 vcc, 0, v1
	v_cndmask_b32_e64 v1, 0, 1, vcc
	v_lshrrev_b32_e32 v2, 8, v8
	v_bfe_u32 v5, v8, 20, 11
	v_and_or_b32 v1, v2, s7, v1
	v_sub_u32_e32 v7, 0x3f1, v5
	v_or_b32_e32 v2, 0x1000, v1
	v_med3_i32 v7, v7, 0, 13
	v_lshrrev_b32_e32 v9, v7, v2
	v_lshlrev_b32_e32 v7, v7, v9
	v_cmp_ne_u32_e32 vcc, v7, v2
	v_cndmask_b32_e64 v2, 0, 1, vcc
	v_add_u32_e32 v5, 0xfffffc10, v5
	v_or_b32_e32 v2, v9, v2
	v_lshl_or_b32 v7, v5, 12, v1
	v_cmp_gt_i32_e32 vcc, 1, v5
	v_cndmask_b32_e32 v2, v7, v2, vcc
	v_and_b32_e32 v7, 7, v2
	v_cmp_lt_i32_e32 vcc, 5, v7
	v_cmp_eq_u32_e64 s[0:1], 3, v7
	v_lshrrev_b32_e32 v2, 2, v2
	s_or_b64 vcc, s[0:1], vcc
	v_addc_co_u32_e32 v2, vcc, 0, v2, vcc
	v_cmp_gt_i32_e32 vcc, 31, v5
	v_cndmask_b32_e32 v2, v13, v2, vcc
	v_cmp_ne_u32_e32 vcc, 0, v1
	v_cndmask_b32_e64 v1, 0, 1, vcc
	v_lshl_or_b32 v1, v1, 9, v13
	v_cmp_eq_u32_e32 vcc, s10, v5
	v_mad_u64_u32 v[9:10], s[0:1], s8, v47, 0
	v_cndmask_b32_e32 v11, v2, v1, vcc
	ds_read2st64_b32 v[1:2], v50 offset0:16 offset1:24
	v_mov_b32_e32 v5, v10
	v_lshrrev_b32_e32 v12, 16, v8
	v_mad_u64_u32 v[7:8], s[0:1], s9, v47, v[5:6]
	s_waitcnt lgkmcnt(0)
	v_lshrrev_b32_e32 v5, 16, v2
	v_mul_f16_sdwa v8, v67, v5 dst_sel:DWORD dst_unused:UNUSED_PAD src0_sel:WORD_1 src1_sel:DWORD
	v_fma_f16 v8, v67, v2, v8
	v_cvt_f32_f16_e32 v8, v8
	v_mov_b32_e32 v10, v7
	v_and_or_b32 v11, v12, s12, v11
	v_and_b32_e32 v0, 0xffff, v0
	v_cvt_f64_f32_e32 v[7:8], v8
	v_lshl_or_b32 v0, v11, 16, v0
	v_mov_b32_e32 v11, s5
	v_add_co_u32_e32 v12, vcc, s4, v3
	v_mul_f64 v[7:8], v[7:8], s[2:3]
	v_addc_co_u32_e32 v11, vcc, v11, v4, vcc
	v_lshlrev_b64 v[3:4], 2, v[9:10]
	v_mul_f16_sdwa v2, v67, v2 dst_sel:DWORD dst_unused:UNUSED_PAD src0_sel:WORD_1 src1_sel:DWORD
	v_add_co_u32_e32 v3, vcc, v12, v3
	v_addc_co_u32_e32 v4, vcc, v11, v4, vcc
	global_store_dword v[3:4], v0, off
	v_and_or_b32 v0, v8, s6, v7
	v_cmp_ne_u32_e32 vcc, 0, v0
	v_cndmask_b32_e64 v0, 0, 1, vcc
	v_lshrrev_b32_e32 v7, 8, v8
	v_bfe_u32 v9, v8, 20, 11
	v_and_or_b32 v0, v7, s7, v0
	v_sub_u32_e32 v10, 0x3f1, v9
	v_or_b32_e32 v7, 0x1000, v0
	v_med3_i32 v10, v10, 0, 13
	v_lshrrev_b32_e32 v11, v10, v7
	v_lshlrev_b32_e32 v10, v10, v11
	v_cmp_ne_u32_e32 vcc, v10, v7
	v_cndmask_b32_e64 v7, 0, 1, vcc
	v_fma_f16 v2, v67, v5, -v2
	v_or_b32_e32 v7, v11, v7
	v_add_u32_e32 v11, 0xfffffc10, v9
	v_cvt_f32_f16_e32 v2, v2
	v_lshl_or_b32 v9, v11, 12, v0
	v_cmp_gt_i32_e32 vcc, 1, v11
	v_cndmask_b32_e32 v7, v9, v7, vcc
	v_and_b32_e32 v9, 7, v7
	v_cmp_lt_i32_e32 vcc, 5, v9
	v_cmp_eq_u32_e64 s[0:1], 3, v9
	v_cvt_f64_f32_e32 v[9:10], v2
	v_lshrrev_b32_e32 v5, 2, v7
	s_or_b64 vcc, s[0:1], vcc
	v_addc_co_u32_e32 v2, vcc, 0, v5, vcc
	v_mul_f64 v[9:10], v[9:10], s[2:3]
	v_cmp_gt_i32_e32 vcc, 31, v11
	v_cndmask_b32_e32 v2, v13, v2, vcc
	v_cmp_ne_u32_e32 vcc, 0, v0
	v_cndmask_b32_e64 v0, 0, 1, vcc
	v_lshl_or_b32 v0, v0, 9, v13
	v_cmp_eq_u32_e32 vcc, s10, v11
	v_cndmask_b32_e32 v0, v2, v0, vcc
	v_lshrrev_b32_e32 v2, 16, v8
	v_and_or_b32 v0, v2, s12, v0
	v_and_or_b32 v2, v10, s6, v9
	v_cmp_ne_u32_e32 vcc, 0, v2
	v_cndmask_b32_e64 v2, 0, 1, vcc
	v_lshrrev_b32_e32 v5, 8, v10
	v_bfe_u32 v7, v10, 20, 11
	v_and_or_b32 v2, v5, s7, v2
	v_sub_u32_e32 v8, 0x3f1, v7
	v_or_b32_e32 v5, 0x1000, v2
	v_med3_i32 v8, v8, 0, 13
	v_lshrrev_b32_e32 v9, v8, v5
	v_lshlrev_b32_e32 v8, v8, v9
	v_cmp_ne_u32_e32 vcc, v8, v5
	v_cndmask_b32_e64 v5, 0, 1, vcc
	v_or_b32_e32 v5, v9, v5
	v_add_u32_e32 v9, 0xfffffc10, v7
	v_lshl_or_b32 v7, v9, 12, v2
	v_cmp_gt_i32_e32 vcc, 1, v9
	v_cndmask_b32_e32 v5, v7, v5, vcc
	v_and_b32_e32 v7, 7, v5
	v_cmp_lt_i32_e32 vcc, 5, v7
	v_cmp_eq_u32_e64 s[0:1], 3, v7
	ds_read2st64_b32 v[7:8], v50 offset0:48 offset1:56
	v_lshrrev_b32_e32 v5, 2, v5
	s_or_b64 vcc, s[0:1], vcc
	v_addc_co_u32_e32 v5, vcc, 0, v5, vcc
	v_cmp_gt_i32_e32 vcc, 31, v9
	v_cndmask_b32_e32 v5, v13, v5, vcc
	v_cmp_ne_u32_e32 vcc, 0, v2
	s_waitcnt lgkmcnt(0)
	v_lshrrev_b32_e32 v14, 16, v7
	v_cndmask_b32_e64 v2, 0, 1, vcc
	v_cmp_eq_u32_e32 vcc, s10, v9
	v_mul_f16_sdwa v9, v66, v14 dst_sel:DWORD dst_unused:UNUSED_PAD src0_sel:WORD_1 src1_sel:DWORD
	v_fma_f16 v9, v66, v7, v9
	v_cvt_f32_f16_e32 v9, v9
	v_lshl_or_b32 v2, v2, 9, v13
	v_cndmask_b32_e32 v2, v5, v2, vcc
	v_lshrrev_b32_e32 v5, 16, v10
	v_cvt_f64_f32_e32 v[9:10], v9
	s_mul_i32 s0, s9, 0x1800
	s_mul_hi_u32 s4, s8, 0x1800
	v_and_or_b32 v2, v5, s12, v2
	v_mul_f64 v[9:10], v[9:10], s[2:3]
	v_and_b32_e32 v0, 0xffff, v0
	s_add_i32 s4, s4, s0
	s_mul_i32 s5, s8, 0x1800
	v_lshl_or_b32 v0, v2, 16, v0
	v_mov_b32_e32 v2, s4
	v_add_co_u32_e32 v11, vcc, s5, v3
	v_addc_co_u32_e32 v12, vcc, v4, v2, vcc
	global_store_dword v[11:12], v0, off
	v_and_or_b32 v0, v10, s6, v9
	v_cmp_ne_u32_e32 vcc, 0, v0
	v_cndmask_b32_e64 v0, 0, 1, vcc
	v_lshrrev_b32_e32 v2, 8, v10
	v_bfe_u32 v3, v10, 20, 11
	v_and_or_b32 v0, v2, s7, v0
	v_sub_u32_e32 v4, 0x3f1, v3
	v_or_b32_e32 v2, 0x1000, v0
	v_med3_i32 v4, v4, 0, 13
	v_lshrrev_b32_e32 v5, v4, v2
	v_lshlrev_b32_e32 v4, v4, v5
	v_cmp_ne_u32_e32 vcc, v4, v2
	v_mul_f16_sdwa v4, v66, v7 dst_sel:DWORD dst_unused:UNUSED_PAD src0_sel:WORD_1 src1_sel:DWORD
	v_cndmask_b32_e64 v2, 0, 1, vcc
	v_fma_f16 v4, v66, v14, -v4
	v_or_b32_e32 v2, v5, v2
	v_add_u32_e32 v5, 0xfffffc10, v3
	v_cvt_f32_f16_e32 v4, v4
	v_lshl_or_b32 v3, v5, 12, v0
	v_cmp_gt_i32_e32 vcc, 1, v5
	v_cndmask_b32_e32 v2, v3, v2, vcc
	v_and_b32_e32 v3, 7, v2
	v_cmp_lt_i32_e32 vcc, 5, v3
	v_cmp_eq_u32_e64 s[0:1], 3, v3
	v_lshrrev_b32_e32 v7, 2, v2
	v_cvt_f64_f32_e32 v[2:3], v4
	s_or_b64 vcc, s[0:1], vcc
	v_addc_co_u32_e32 v4, vcc, 0, v7, vcc
	v_cmp_gt_i32_e32 vcc, 31, v5
	v_cndmask_b32_e32 v7, v13, v4, vcc
	v_mul_f64 v[3:4], v[2:3], s[2:3]
	v_cmp_ne_u32_e32 vcc, 0, v0
	v_cndmask_b32_e64 v0, 0, 1, vcc
	v_lshl_or_b32 v0, v0, 9, v13
	v_cmp_eq_u32_e32 vcc, s10, v5
	v_cndmask_b32_e32 v0, v7, v0, vcc
	v_lshrrev_b32_e32 v2, 16, v10
	v_and_or_b32 v0, v2, s12, v0
	v_and_or_b32 v2, v4, s6, v3
	v_cmp_ne_u32_e32 vcc, 0, v2
	v_cndmask_b32_e64 v2, 0, 1, vcc
	v_lshrrev_b32_e32 v3, 8, v4
	v_and_or_b32 v5, v3, s7, v2
	v_bfe_u32 v3, v4, 20, 11
	v_sub_u32_e32 v7, 0x3f1, v3
	v_or_b32_e32 v2, 0x1000, v5
	v_med3_i32 v7, v7, 0, 13
	v_lshrrev_b32_e32 v9, v7, v2
	v_lshlrev_b32_e32 v7, v7, v9
	v_cmp_ne_u32_e32 vcc, v7, v2
	v_cndmask_b32_e64 v2, 0, 1, vcc
	v_add_u32_e32 v7, 0xfffffc10, v3
	v_or_b32_e32 v2, v9, v2
	v_lshl_or_b32 v3, v7, 12, v5
	v_cmp_gt_i32_e32 vcc, 1, v7
	v_cndmask_b32_e32 v2, v3, v2, vcc
	v_and_b32_e32 v3, 7, v2
	v_cmp_lt_i32_e32 vcc, 5, v3
	v_cmp_eq_u32_e64 s[0:1], 3, v3
	v_lshrrev_b32_e32 v2, 2, v2
	s_or_b64 vcc, s[0:1], vcc
	v_addc_co_u32_e32 v9, vcc, 0, v2, vcc
	ds_read2st64_b32 v[2:3], v50 offset0:64 offset1:72
	v_cmp_gt_i32_e32 vcc, 31, v7
	v_cndmask_b32_e32 v9, v13, v9, vcc
	v_cmp_ne_u32_e32 vcc, 0, v5
	v_cndmask_b32_e64 v5, 0, 1, vcc
	s_waitcnt lgkmcnt(0)
	v_lshrrev_b32_e32 v14, 16, v3
	v_mul_f16_sdwa v10, v65, v14 dst_sel:DWORD dst_unused:UNUSED_PAD src0_sel:WORD_1 src1_sel:DWORD
	v_fma_f16 v10, v65, v3, v10
	v_cvt_f32_f16_e32 v10, v10
	v_lshl_or_b32 v5, v5, 9, v13
	v_cmp_eq_u32_e32 vcc, s10, v7
	v_cndmask_b32_e32 v5, v9, v5, vcc
	v_cvt_f64_f32_e32 v[9:10], v10
	v_lshrrev_b32_e32 v4, 16, v4
	v_and_or_b32 v7, v4, s12, v5
	v_and_b32_e32 v0, 0xffff, v0
	v_mul_f64 v[4:5], v[9:10], s[2:3]
	v_lshl_or_b32 v0, v7, 16, v0
	v_mov_b32_e32 v7, s4
	v_add_co_u32_e32 v11, vcc, s5, v11
	v_addc_co_u32_e32 v12, vcc, v12, v7, vcc
	global_store_dword v[11:12], v0, off
	v_and_or_b32 v0, v5, s6, v4
	v_cmp_ne_u32_e32 vcc, 0, v0
	v_cndmask_b32_e64 v0, 0, 1, vcc
	v_lshrrev_b32_e32 v4, 8, v5
	v_bfe_u32 v7, v5, 20, 11
	v_and_or_b32 v0, v4, s7, v0
	v_sub_u32_e32 v9, 0x3f1, v7
	v_or_b32_e32 v4, 0x1000, v0
	v_med3_i32 v9, v9, 0, 13
	v_lshrrev_b32_e32 v10, v9, v4
	v_lshlrev_b32_e32 v9, v9, v10
	v_mul_f16_sdwa v3, v65, v3 dst_sel:DWORD dst_unused:UNUSED_PAD src0_sel:WORD_1 src1_sel:DWORD
	v_cmp_ne_u32_e32 vcc, v9, v4
	v_fma_f16 v3, v65, v14, -v3
	v_cndmask_b32_e64 v4, 0, 1, vcc
	v_add_u32_e32 v7, 0xfffffc10, v7
	v_cvt_f32_f16_e32 v3, v3
	v_or_b32_e32 v4, v10, v4
	v_lshl_or_b32 v9, v7, 12, v0
	v_cmp_gt_i32_e32 vcc, 1, v7
	v_cndmask_b32_e32 v4, v9, v4, vcc
	v_and_b32_e32 v9, 7, v4
	v_cmp_lt_i32_e32 vcc, 5, v9
	v_cmp_eq_u32_e64 s[0:1], 3, v9
	v_lshrrev_b32_e32 v9, 2, v4
	v_cvt_f64_f32_e32 v[3:4], v3
	s_or_b64 vcc, s[0:1], vcc
	v_addc_co_u32_e32 v9, vcc, 0, v9, vcc
	v_mul_f64 v[3:4], v[3:4], s[2:3]
	v_cmp_gt_i32_e32 vcc, 31, v7
	v_cndmask_b32_e32 v9, v13, v9, vcc
	v_cmp_ne_u32_e32 vcc, 0, v0
	v_cndmask_b32_e64 v0, 0, 1, vcc
	v_lshl_or_b32 v0, v0, 9, v13
	v_cmp_eq_u32_e32 vcc, s10, v7
	v_cndmask_b32_e32 v0, v9, v0, vcc
	v_and_or_b32 v3, v4, s6, v3
	v_lshrrev_b32_e32 v5, 16, v5
	v_cmp_ne_u32_e32 vcc, 0, v3
	v_and_or_b32 v0, v5, s12, v0
	v_cndmask_b32_e64 v3, 0, 1, vcc
	v_lshrrev_b32_e32 v5, 8, v4
	v_bfe_u32 v7, v4, 20, 11
	v_and_or_b32 v3, v5, s7, v3
	v_sub_u32_e32 v9, 0x3f1, v7
	v_or_b32_e32 v5, 0x1000, v3
	v_med3_i32 v9, v9, 0, 13
	v_lshrrev_b32_e32 v10, v9, v5
	v_lshlrev_b32_e32 v9, v9, v10
	v_cmp_ne_u32_e32 vcc, v9, v5
	v_cndmask_b32_e64 v5, 0, 1, vcc
	v_add_u32_e32 v7, 0xfffffc10, v7
	v_or_b32_e32 v5, v10, v5
	v_lshl_or_b32 v9, v7, 12, v3
	v_cmp_gt_i32_e32 vcc, 1, v7
	v_cndmask_b32_e32 v5, v9, v5, vcc
	v_and_b32_e32 v9, 7, v5
	v_cmp_lt_i32_e32 vcc, 5, v9
	v_cmp_eq_u32_e64 s[0:1], 3, v9
	ds_read2st64_b32 v[9:10], v50 offset0:96 offset1:104
	v_lshrrev_b32_e32 v5, 2, v5
	s_or_b64 vcc, s[0:1], vcc
	v_addc_co_u32_e32 v5, vcc, 0, v5, vcc
	s_waitcnt lgkmcnt(0)
	v_lshrrev_b32_e32 v16, 16, v9
	v_mul_f16_sdwa v14, v64, v16 dst_sel:DWORD dst_unused:UNUSED_PAD src0_sel:WORD_1 src1_sel:DWORD
	v_fma_f16 v14, v64, v9, v14
	v_cvt_f32_f16_e32 v14, v14
	v_cmp_gt_i32_e32 vcc, 31, v7
	v_cndmask_b32_e32 v5, v13, v5, vcc
	v_cmp_ne_u32_e32 vcc, 0, v3
	v_cvt_f64_f32_e32 v[14:15], v14
	v_cndmask_b32_e64 v3, 0, 1, vcc
	v_lshl_or_b32 v3, v3, 9, v13
	v_cmp_eq_u32_e32 vcc, s10, v7
	v_cndmask_b32_e32 v3, v5, v3, vcc
	v_lshrrev_b32_e32 v4, 16, v4
	v_and_or_b32 v5, v4, s12, v3
	v_mul_f64 v[3:4], v[14:15], s[2:3]
	v_and_b32_e32 v0, 0xffff, v0
	v_lshl_or_b32 v0, v5, 16, v0
	v_mov_b32_e32 v5, s4
	v_add_co_u32_e32 v11, vcc, s5, v11
	v_addc_co_u32_e32 v12, vcc, v12, v5, vcc
	global_store_dword v[11:12], v0, off
	v_and_or_b32 v0, v4, s6, v3
	v_cmp_ne_u32_e32 vcc, 0, v0
	v_cndmask_b32_e64 v0, 0, 1, vcc
	v_lshrrev_b32_e32 v3, 8, v4
	v_bfe_u32 v5, v4, 20, 11
	v_and_or_b32 v0, v3, s7, v0
	v_sub_u32_e32 v7, 0x3f1, v5
	v_mul_f16_sdwa v9, v64, v9 dst_sel:DWORD dst_unused:UNUSED_PAD src0_sel:WORD_1 src1_sel:DWORD
	v_or_b32_e32 v3, 0x1000, v0
	v_med3_i32 v7, v7, 0, 13
	v_fma_f16 v9, v64, v16, -v9
	v_lshrrev_b32_e32 v14, v7, v3
	v_cvt_f32_f16_e32 v9, v9
	v_lshlrev_b32_e32 v7, v7, v14
	v_cmp_ne_u32_e32 vcc, v7, v3
	v_cndmask_b32_e64 v3, 0, 1, vcc
	v_or_b32_e32 v3, v14, v3
	v_add_u32_e32 v5, 0xfffffc10, v5
	v_cvt_f64_f32_e32 v[14:15], v9
	v_lshl_or_b32 v7, v5, 12, v0
	v_cmp_gt_i32_e32 vcc, 1, v5
	v_cndmask_b32_e32 v3, v7, v3, vcc
	v_and_b32_e32 v7, 7, v3
	v_cmp_lt_i32_e32 vcc, 5, v7
	v_cmp_eq_u32_e64 s[0:1], 3, v7
	v_mul_f64 v[14:15], v[14:15], s[2:3]
	v_lshrrev_b32_e32 v3, 2, v3
	s_or_b64 vcc, s[0:1], vcc
	v_addc_co_u32_e32 v3, vcc, 0, v3, vcc
	v_cmp_gt_i32_e32 vcc, 31, v5
	v_cndmask_b32_e32 v3, v13, v3, vcc
	v_cmp_ne_u32_e32 vcc, 0, v0
	v_cndmask_b32_e64 v0, 0, 1, vcc
	v_lshl_or_b32 v0, v0, 9, v13
	v_cmp_eq_u32_e32 vcc, s10, v5
	v_cndmask_b32_e32 v0, v3, v0, vcc
	v_lshrrev_b32_e32 v3, 16, v4
	v_and_or_b32 v0, v3, s12, v0
	v_and_or_b32 v3, v15, s6, v14
	v_cmp_ne_u32_e32 vcc, 0, v3
	v_cndmask_b32_e64 v3, 0, 1, vcc
	v_lshrrev_b32_e32 v4, 8, v15
	v_and_or_b32 v5, v4, s7, v3
	v_bfe_u32 v4, v15, 20, 11
	v_sub_u32_e32 v7, 0x3f1, v4
	v_or_b32_e32 v3, 0x1000, v5
	v_med3_i32 v7, v7, 0, 13
	v_lshrrev_b32_e32 v9, v7, v3
	v_lshlrev_b32_e32 v7, v7, v9
	v_cmp_ne_u32_e32 vcc, v7, v3
	v_cndmask_b32_e64 v3, 0, 1, vcc
	v_add_u32_e32 v7, 0xfffffc10, v4
	v_or_b32_e32 v3, v9, v3
	v_lshl_or_b32 v4, v7, 12, v5
	v_cmp_gt_i32_e32 vcc, 1, v7
	v_cndmask_b32_e32 v3, v4, v3, vcc
	v_and_b32_e32 v4, 7, v3
	v_cmp_lt_i32_e32 vcc, 5, v4
	v_cmp_eq_u32_e64 s[0:1], 3, v4
	v_lshrrev_b32_e32 v3, 2, v3
	s_or_b64 vcc, s[0:1], vcc
	v_addc_co_u32_e32 v9, vcc, 0, v3, vcc
	ds_read2st64_b32 v[3:4], v50 offset0:112 offset1:120
	v_cmp_gt_i32_e32 vcc, 31, v7
	v_cndmask_b32_e32 v9, v13, v9, vcc
	v_cmp_ne_u32_e32 vcc, 0, v5
	v_cndmask_b32_e64 v5, 0, 1, vcc
	s_waitcnt lgkmcnt(0)
	v_lshrrev_b32_e32 v18, 16, v4
	v_mul_f16_sdwa v14, v63, v18 dst_sel:DWORD dst_unused:UNUSED_PAD src0_sel:WORD_1 src1_sel:DWORD
	v_fma_f16 v14, v63, v4, v14
	v_cvt_f32_f16_e32 v14, v14
	v_cmp_eq_u32_e32 vcc, s10, v7
	v_lshrrev_b32_e32 v7, 16, v15
	v_lshl_or_b32 v5, v5, 9, v13
	v_cvt_f64_f32_e32 v[16:17], v14
	v_cndmask_b32_e32 v5, v9, v5, vcc
	v_and_or_b32 v5, v7, s12, v5
	v_and_b32_e32 v0, 0xffff, v0
	v_mul_f64 v[14:15], v[16:17], s[2:3]
	v_lshl_or_b32 v0, v5, 16, v0
	v_mov_b32_e32 v5, s4
	v_add_co_u32_e32 v16, vcc, s5, v11
	v_addc_co_u32_e32 v17, vcc, v12, v5, vcc
	global_store_dword v[16:17], v0, off
	v_and_or_b32 v0, v15, s6, v14
	v_cmp_ne_u32_e32 vcc, 0, v0
	v_cndmask_b32_e64 v0, 0, 1, vcc
	v_lshrrev_b32_e32 v5, 8, v15
	v_bfe_u32 v7, v15, 20, 11
	v_and_or_b32 v0, v5, s7, v0
	v_sub_u32_e32 v9, 0x3f1, v7
	v_or_b32_e32 v5, 0x1000, v0
	v_med3_i32 v9, v9, 0, 13
	v_lshrrev_b32_e32 v11, v9, v5
	v_lshlrev_b32_e32 v9, v9, v11
	v_mul_f16_sdwa v4, v63, v4 dst_sel:DWORD dst_unused:UNUSED_PAD src0_sel:WORD_1 src1_sel:DWORD
	v_cmp_ne_u32_e32 vcc, v9, v5
	v_fma_f16 v4, v63, v18, -v4
	v_cndmask_b32_e64 v5, 0, 1, vcc
	v_add_u32_e32 v7, 0xfffffc10, v7
	v_cvt_f32_f16_e32 v4, v4
	v_or_b32_e32 v5, v11, v5
	v_lshl_or_b32 v9, v7, 12, v0
	v_cmp_gt_i32_e32 vcc, 1, v7
	v_cndmask_b32_e32 v5, v9, v5, vcc
	v_and_b32_e32 v9, 7, v5
	v_cmp_lt_i32_e32 vcc, 5, v9
	v_cmp_eq_u32_e64 s[0:1], 3, v9
	v_lshrrev_b32_e32 v9, 2, v5
	v_cvt_f64_f32_e32 v[4:5], v4
	s_or_b64 vcc, s[0:1], vcc
	v_addc_co_u32_e32 v9, vcc, 0, v9, vcc
	v_mul_f64 v[4:5], v[4:5], s[2:3]
	v_cmp_gt_i32_e32 vcc, 31, v7
	v_cndmask_b32_e32 v9, v13, v9, vcc
	v_cmp_ne_u32_e32 vcc, 0, v0
	v_cndmask_b32_e64 v0, 0, 1, vcc
	v_lshl_or_b32 v0, v0, 9, v13
	v_cmp_eq_u32_e32 vcc, s10, v7
	v_cndmask_b32_e32 v0, v9, v0, vcc
	v_and_or_b32 v4, v5, s6, v4
	v_lshrrev_b32_e32 v7, 16, v15
	v_cmp_ne_u32_e32 vcc, 0, v4
	v_and_or_b32 v0, v7, s12, v0
	v_cndmask_b32_e64 v4, 0, 1, vcc
	v_lshrrev_b32_e32 v7, 8, v5
	v_bfe_u32 v9, v5, 20, 11
	v_and_or_b32 v4, v7, s7, v4
	v_sub_u32_e32 v11, 0x3f1, v9
	v_or_b32_e32 v7, 0x1000, v4
	v_med3_i32 v11, v11, 0, 13
	v_lshrrev_b32_e32 v12, v11, v7
	v_lshlrev_b32_e32 v11, v11, v12
	v_cmp_ne_u32_e32 vcc, v11, v7
	v_cndmask_b32_e64 v7, 0, 1, vcc
	v_add_u32_e32 v9, 0xfffffc10, v9
	v_or_b32_e32 v7, v12, v7
	v_lshl_or_b32 v11, v9, 12, v4
	v_cmp_gt_i32_e32 vcc, 1, v9
	v_cndmask_b32_e32 v7, v11, v7, vcc
	v_and_b32_e32 v11, 7, v7
	v_cmp_lt_i32_e32 vcc, 5, v11
	v_cmp_eq_u32_e64 s[0:1], 3, v11
	ds_read2st64_b32 v[11:12], v50 offset0:144 offset1:152
	v_lshrrev_b32_e32 v7, 2, v7
	s_or_b64 vcc, s[0:1], vcc
	v_addc_co_u32_e32 v7, vcc, 0, v7, vcc
	s_waitcnt lgkmcnt(0)
	v_lshrrev_b32_e32 v18, 16, v11
	v_mul_f16_sdwa v14, v62, v18 dst_sel:DWORD dst_unused:UNUSED_PAD src0_sel:WORD_1 src1_sel:DWORD
	v_fma_f16 v14, v62, v11, v14
	v_cvt_f32_f16_e32 v14, v14
	v_cmp_gt_i32_e32 vcc, 31, v9
	v_cndmask_b32_e32 v7, v13, v7, vcc
	v_cmp_ne_u32_e32 vcc, 0, v4
	v_cvt_f64_f32_e32 v[14:15], v14
	v_cndmask_b32_e64 v4, 0, 1, vcc
	v_lshl_or_b32 v4, v4, 9, v13
	v_cmp_eq_u32_e32 vcc, s10, v9
	v_cndmask_b32_e32 v4, v7, v4, vcc
	v_lshrrev_b32_e32 v5, 16, v5
	v_and_or_b32 v7, v5, s12, v4
	v_mul_f64 v[4:5], v[14:15], s[2:3]
	v_and_b32_e32 v0, 0xffff, v0
	v_lshl_or_b32 v0, v7, 16, v0
	v_mov_b32_e32 v7, s4
	v_add_co_u32_e32 v14, vcc, s5, v16
	v_addc_co_u32_e32 v15, vcc, v17, v7, vcc
	global_store_dword v[14:15], v0, off
	v_and_or_b32 v0, v5, s6, v4
	v_cmp_ne_u32_e32 vcc, 0, v0
	v_cndmask_b32_e64 v0, 0, 1, vcc
	v_lshrrev_b32_e32 v4, 8, v5
	v_bfe_u32 v7, v5, 20, 11
	v_and_or_b32 v0, v4, s7, v0
	v_sub_u32_e32 v9, 0x3f1, v7
	v_mul_f16_sdwa v11, v62, v11 dst_sel:DWORD dst_unused:UNUSED_PAD src0_sel:WORD_1 src1_sel:DWORD
	v_or_b32_e32 v4, 0x1000, v0
	v_med3_i32 v9, v9, 0, 13
	v_fma_f16 v11, v62, v18, -v11
	v_lshrrev_b32_e32 v16, v9, v4
	v_cvt_f32_f16_e32 v11, v11
	v_lshlrev_b32_e32 v9, v9, v16
	v_cmp_ne_u32_e32 vcc, v9, v4
	v_cndmask_b32_e64 v4, 0, 1, vcc
	v_or_b32_e32 v4, v16, v4
	v_add_u32_e32 v7, 0xfffffc10, v7
	v_cvt_f64_f32_e32 v[16:17], v11
	v_lshl_or_b32 v9, v7, 12, v0
	v_cmp_gt_i32_e32 vcc, 1, v7
	v_cndmask_b32_e32 v4, v9, v4, vcc
	v_and_b32_e32 v9, 7, v4
	v_cmp_lt_i32_e32 vcc, 5, v9
	v_cmp_eq_u32_e64 s[0:1], 3, v9
	v_mul_f64 v[16:17], v[16:17], s[2:3]
	v_lshrrev_b32_e32 v4, 2, v4
	s_or_b64 vcc, s[0:1], vcc
	v_addc_co_u32_e32 v4, vcc, 0, v4, vcc
	v_cmp_gt_i32_e32 vcc, 31, v7
	v_cndmask_b32_e32 v4, v13, v4, vcc
	v_cmp_ne_u32_e32 vcc, 0, v0
	v_cndmask_b32_e64 v0, 0, 1, vcc
	v_lshl_or_b32 v0, v0, 9, v13
	v_cmp_eq_u32_e32 vcc, s10, v7
	v_cndmask_b32_e32 v0, v4, v0, vcc
	v_lshrrev_b32_e32 v4, 16, v5
	v_and_or_b32 v0, v4, s12, v0
	v_and_or_b32 v4, v17, s6, v16
	v_cmp_ne_u32_e32 vcc, 0, v4
	v_cndmask_b32_e64 v4, 0, 1, vcc
	v_lshrrev_b32_e32 v5, 8, v17
	v_and_or_b32 v7, v5, s7, v4
	v_bfe_u32 v5, v17, 20, 11
	v_sub_u32_e32 v9, 0x3f1, v5
	v_or_b32_e32 v4, 0x1000, v7
	v_med3_i32 v9, v9, 0, 13
	v_lshrrev_b32_e32 v11, v9, v4
	v_lshlrev_b32_e32 v9, v9, v11
	v_cmp_ne_u32_e32 vcc, v9, v4
	v_cndmask_b32_e64 v4, 0, 1, vcc
	v_add_u32_e32 v9, 0xfffffc10, v5
	v_or_b32_e32 v4, v11, v4
	v_lshl_or_b32 v5, v9, 12, v7
	v_cmp_gt_i32_e32 vcc, 1, v9
	v_cndmask_b32_e32 v4, v5, v4, vcc
	v_and_b32_e32 v5, 7, v4
	v_cmp_lt_i32_e32 vcc, 5, v5
	v_cmp_eq_u32_e64 s[0:1], 3, v5
	v_lshrrev_b32_e32 v4, 2, v4
	s_or_b64 vcc, s[0:1], vcc
	v_addc_co_u32_e32 v11, vcc, 0, v4, vcc
	ds_read2st64_b32 v[4:5], v50 offset0:160 offset1:168
	v_cmp_gt_i32_e32 vcc, 31, v9
	v_cndmask_b32_e32 v11, v13, v11, vcc
	v_cmp_ne_u32_e32 vcc, 0, v7
	v_cndmask_b32_e64 v7, 0, 1, vcc
	s_waitcnt lgkmcnt(0)
	v_lshrrev_b32_e32 v20, 16, v5
	v_mul_f16_sdwa v16, v61, v20 dst_sel:DWORD dst_unused:UNUSED_PAD src0_sel:WORD_1 src1_sel:DWORD
	v_fma_f16 v16, v61, v5, v16
	v_cvt_f32_f16_e32 v16, v16
	v_cmp_eq_u32_e32 vcc, s10, v9
	v_lshrrev_b32_e32 v9, 16, v17
	v_lshl_or_b32 v7, v7, 9, v13
	v_cvt_f64_f32_e32 v[18:19], v16
	v_cndmask_b32_e32 v7, v11, v7, vcc
	v_and_or_b32 v7, v9, s12, v7
	v_and_b32_e32 v0, 0xffff, v0
	v_mul_f64 v[16:17], v[18:19], s[2:3]
	v_lshl_or_b32 v0, v7, 16, v0
	v_mov_b32_e32 v7, s4
	v_add_co_u32_e32 v14, vcc, s5, v14
	v_addc_co_u32_e32 v15, vcc, v15, v7, vcc
	global_store_dword v[14:15], v0, off
	v_and_or_b32 v0, v17, s6, v16
	v_cmp_ne_u32_e32 vcc, 0, v0
	v_cndmask_b32_e64 v0, 0, 1, vcc
	v_lshrrev_b32_e32 v7, 8, v17
	v_bfe_u32 v9, v17, 20, 11
	v_mul_f16_sdwa v5, v61, v5 dst_sel:DWORD dst_unused:UNUSED_PAD src0_sel:WORD_1 src1_sel:DWORD
	v_and_or_b32 v0, v7, s7, v0
	v_sub_u32_e32 v11, 0x3f1, v9
	v_fma_f16 v5, v61, v20, -v5
	v_or_b32_e32 v7, 0x1000, v0
	v_med3_i32 v11, v11, 0, 13
	v_cvt_f32_f16_e32 v5, v5
	v_lshrrev_b32_e32 v16, v11, v7
	v_lshlrev_b32_e32 v11, v11, v16
	v_cmp_ne_u32_e32 vcc, v11, v7
	v_cndmask_b32_e64 v7, 0, 1, vcc
	v_add_u32_e32 v9, 0xfffffc10, v9
	v_cvt_f64_f32_e32 v[18:19], v5
	v_or_b32_e32 v7, v16, v7
	v_lshl_or_b32 v11, v9, 12, v0
	v_cmp_gt_i32_e32 vcc, 1, v9
	v_cndmask_b32_e32 v7, v11, v7, vcc
	v_and_b32_e32 v11, 7, v7
	v_cmp_lt_i32_e32 vcc, 5, v11
	v_cmp_eq_u32_e64 s[0:1], 3, v11
	v_mul_f64 v[18:19], v[18:19], s[2:3]
	v_lshrrev_b32_e32 v7, 2, v7
	s_or_b64 vcc, s[0:1], vcc
	v_addc_co_u32_e32 v5, vcc, 0, v7, vcc
	v_cmp_gt_i32_e32 vcc, 31, v9
	v_cndmask_b32_e32 v5, v13, v5, vcc
	v_cmp_ne_u32_e32 vcc, 0, v0
	v_cndmask_b32_e64 v0, 0, 1, vcc
	v_lshl_or_b32 v0, v0, 9, v13
	v_cmp_eq_u32_e32 vcc, s10, v9
	v_cndmask_b32_e32 v0, v5, v0, vcc
	v_lshrrev_b32_e32 v5, 16, v17
	v_and_or_b32 v0, v5, s12, v0
	v_and_or_b32 v5, v19, s6, v18
	v_cmp_ne_u32_e32 vcc, 0, v5
	v_cndmask_b32_e64 v5, 0, 1, vcc
	v_lshrrev_b32_e32 v7, 8, v19
	v_bfe_u32 v9, v19, 20, 11
	v_and_or_b32 v5, v7, s7, v5
	v_sub_u32_e32 v11, 0x3f1, v9
	v_or_b32_e32 v7, 0x1000, v5
	v_med3_i32 v11, v11, 0, 13
	v_lshrrev_b32_e32 v16, v11, v7
	v_lshlrev_b32_e32 v11, v11, v16
	v_cmp_ne_u32_e32 vcc, v11, v7
	v_cndmask_b32_e64 v7, 0, 1, vcc
	v_add_u32_e32 v9, 0xfffffc10, v9
	v_or_b32_e32 v7, v16, v7
	v_lshl_or_b32 v11, v9, 12, v5
	v_cmp_gt_i32_e32 vcc, 1, v9
	v_cndmask_b32_e32 v7, v11, v7, vcc
	v_and_b32_e32 v11, 7, v7
	v_cmp_lt_i32_e32 vcc, 5, v11
	v_cmp_eq_u32_e64 s[0:1], 3, v11
	v_lshrrev_b32_e32 v11, 16, v6
	v_mul_f16_sdwa v16, v60, v11 dst_sel:DWORD dst_unused:UNUSED_PAD src0_sel:WORD_1 src1_sel:DWORD
	v_fma_f16 v16, v60, v6, v16
	v_cvt_f32_f16_e32 v16, v16
	v_lshrrev_b32_e32 v7, 2, v7
	s_or_b64 vcc, s[0:1], vcc
	v_addc_co_u32_e32 v7, vcc, 0, v7, vcc
	v_cvt_f64_f32_e32 v[16:17], v16
	v_cmp_gt_i32_e32 vcc, 31, v9
	v_cndmask_b32_e32 v7, v13, v7, vcc
	v_cmp_ne_u32_e32 vcc, 0, v5
	v_mul_f64 v[16:17], v[16:17], s[2:3]
	v_cndmask_b32_e64 v5, 0, 1, vcc
	v_lshl_or_b32 v5, v5, 9, v13
	v_cmp_eq_u32_e32 vcc, s10, v9
	v_cndmask_b32_e32 v5, v7, v5, vcc
	v_lshrrev_b32_e32 v7, 16, v19
	v_and_or_b32 v5, v7, s12, v5
	v_and_b32_e32 v0, 0xffff, v0
	v_lshl_or_b32 v0, v5, 16, v0
	v_mov_b32_e32 v5, s4
	v_add_co_u32_e32 v14, vcc, s5, v14
	v_addc_co_u32_e32 v15, vcc, v15, v5, vcc
	global_store_dword v[14:15], v0, off
	v_and_or_b32 v0, v17, s6, v16
	v_cmp_ne_u32_e32 vcc, 0, v0
	v_cndmask_b32_e64 v0, 0, 1, vcc
	v_lshrrev_b32_e32 v5, 8, v17
	v_bfe_u32 v7, v17, 20, 11
	v_and_or_b32 v0, v5, s7, v0
	v_sub_u32_e32 v9, 0x3f1, v7
	v_or_b32_e32 v5, 0x1000, v0
	v_med3_i32 v9, v9, 0, 13
	v_lshrrev_b32_e32 v16, v9, v5
	v_lshlrev_b32_e32 v9, v9, v16
	v_mul_f16_sdwa v6, v60, v6 dst_sel:DWORD dst_unused:UNUSED_PAD src0_sel:WORD_1 src1_sel:DWORD
	v_cmp_ne_u32_e32 vcc, v9, v5
	v_fma_f16 v6, v60, v11, -v6
	v_cndmask_b32_e64 v5, 0, 1, vcc
	v_add_u32_e32 v9, 0xfffffc10, v7
	v_cvt_f32_f16_e32 v6, v6
	v_or_b32_e32 v5, v16, v5
	v_lshl_or_b32 v7, v9, 12, v0
	v_cmp_gt_i32_e32 vcc, 1, v9
	v_cndmask_b32_e32 v5, v7, v5, vcc
	v_and_b32_e32 v7, 7, v5
	v_cmp_lt_i32_e32 vcc, 5, v7
	v_cmp_eq_u32_e64 s[0:1], 3, v7
	v_lshrrev_b32_e32 v7, 2, v5
	v_cvt_f64_f32_e32 v[5:6], v6
	s_or_b64 vcc, s[0:1], vcc
	v_addc_co_u32_e32 v7, vcc, 0, v7, vcc
	v_cmp_gt_i32_e32 vcc, 31, v9
	v_cndmask_b32_e32 v11, v13, v7, vcc
	v_mul_f64 v[6:7], v[5:6], s[2:3]
	v_cmp_ne_u32_e32 vcc, 0, v0
	v_cndmask_b32_e64 v0, 0, 1, vcc
	v_lshl_or_b32 v0, v0, 9, v13
	v_cmp_eq_u32_e32 vcc, s10, v9
	v_cndmask_b32_e32 v0, v11, v0, vcc
	v_lshrrev_b32_e32 v5, 16, v17
	v_and_or_b32 v0, v5, s12, v0
	v_and_or_b32 v5, v7, s6, v6
	v_cmp_ne_u32_e32 vcc, 0, v5
	v_cndmask_b32_e64 v5, 0, 1, vcc
	v_lshrrev_b32_e32 v6, 8, v7
	v_and_or_b32 v9, v6, s7, v5
	v_bfe_u32 v6, v7, 20, 11
	v_sub_u32_e32 v11, 0x3f1, v6
	v_or_b32_e32 v5, 0x1000, v9
	v_med3_i32 v11, v11, 0, 13
	v_lshrrev_b32_e32 v16, v11, v5
	v_lshlrev_b32_e32 v11, v11, v16
	v_cmp_ne_u32_e32 vcc, v11, v5
	v_cndmask_b32_e64 v5, 0, 1, vcc
	v_add_u32_e32 v11, 0xfffffc10, v6
	v_or_b32_e32 v5, v16, v5
	v_lshl_or_b32 v6, v11, 12, v9
	v_cmp_gt_i32_e32 vcc, 1, v11
	v_cndmask_b32_e32 v5, v6, v5, vcc
	v_and_b32_e32 v6, 7, v5
	v_cmp_lt_i32_e32 vcc, 5, v6
	v_cmp_eq_u32_e64 s[0:1], 3, v6
	v_lshrrev_b32_e32 v5, 2, v5
	s_or_b64 vcc, s[0:1], vcc
	v_addc_co_u32_e32 v16, vcc, 0, v5, vcc
	ds_read2st64_b32 v[5:6], v50 offset0:32 offset1:40
	v_cmp_gt_i32_e32 vcc, 31, v11
	v_cndmask_b32_e32 v16, v13, v16, vcc
	v_cmp_ne_u32_e32 vcc, 0, v9
	v_cndmask_b32_e64 v9, 0, 1, vcc
	s_waitcnt lgkmcnt(0)
	v_lshrrev_b32_e32 v18, 16, v5
	v_mul_f16_sdwa v17, v59, v18 dst_sel:DWORD dst_unused:UNUSED_PAD src0_sel:WORD_1 src1_sel:DWORD
	v_fma_f16 v17, v59, v5, v17
	v_cvt_f32_f16_e32 v17, v17
	v_lshl_or_b32 v9, v9, 9, v13
	v_cmp_eq_u32_e32 vcc, s10, v11
	v_cndmask_b32_e32 v9, v16, v9, vcc
	v_cvt_f64_f32_e32 v[16:17], v17
	v_mov_b32_e32 v20, 0xffff6000
	v_mad_u64_u32 v[14:15], s[0:1], s8, v20, v[14:15]
	v_mul_f64 v[16:17], v[16:17], s[2:3]
	v_lshrrev_b32_e32 v7, 16, v7
	s_mul_i32 s0, s9, 0xffff6000
	v_and_or_b32 v7, v7, s12, v9
	v_and_b32_e32 v0, 0xffff, v0
	s_sub_i32 s9, s0, s8
	v_lshl_or_b32 v0, v7, 16, v0
	v_add_u32_e32 v15, s9, v15
	global_store_dword v[14:15], v0, off
	v_and_or_b32 v0, v17, s6, v16
	v_cmp_ne_u32_e32 vcc, 0, v0
	v_cndmask_b32_e64 v0, 0, 1, vcc
	v_lshrrev_b32_e32 v7, 8, v17
	v_bfe_u32 v9, v17, 20, 11
	v_mul_f16_sdwa v5, v59, v5 dst_sel:DWORD dst_unused:UNUSED_PAD src0_sel:WORD_1 src1_sel:DWORD
	v_and_or_b32 v0, v7, s7, v0
	v_sub_u32_e32 v11, 0x3f1, v9
	v_fma_f16 v5, v59, v18, -v5
	v_or_b32_e32 v7, 0x1000, v0
	v_med3_i32 v11, v11, 0, 13
	v_cvt_f32_f16_e32 v5, v5
	v_lshrrev_b32_e32 v16, v11, v7
	v_lshlrev_b32_e32 v11, v11, v16
	v_cmp_ne_u32_e32 vcc, v11, v7
	v_cndmask_b32_e64 v7, 0, 1, vcc
	v_add_u32_e32 v9, 0xfffffc10, v9
	v_cvt_f64_f32_e32 v[18:19], v5
	v_or_b32_e32 v7, v16, v7
	v_lshl_or_b32 v11, v9, 12, v0
	v_cmp_gt_i32_e32 vcc, 1, v9
	v_cndmask_b32_e32 v7, v11, v7, vcc
	v_and_b32_e32 v11, 7, v7
	v_cmp_lt_i32_e32 vcc, 5, v11
	v_cmp_eq_u32_e64 s[0:1], 3, v11
	v_mul_f64 v[18:19], v[18:19], s[2:3]
	v_lshrrev_b32_e32 v7, 2, v7
	s_or_b64 vcc, s[0:1], vcc
	v_addc_co_u32_e32 v5, vcc, 0, v7, vcc
	v_cmp_gt_i32_e32 vcc, 31, v9
	v_cndmask_b32_e32 v5, v13, v5, vcc
	v_cmp_ne_u32_e32 vcc, 0, v0
	v_cndmask_b32_e64 v0, 0, 1, vcc
	v_lshl_or_b32 v0, v0, 9, v13
	v_cmp_eq_u32_e32 vcc, s10, v9
	v_cndmask_b32_e32 v0, v5, v0, vcc
	v_lshrrev_b32_e32 v5, 16, v17
	v_and_or_b32 v0, v5, s12, v0
	v_and_or_b32 v5, v19, s6, v18
	v_cmp_ne_u32_e32 vcc, 0, v5
	v_cndmask_b32_e64 v5, 0, 1, vcc
	v_lshrrev_b32_e32 v7, 8, v19
	v_bfe_u32 v9, v19, 20, 11
	v_and_or_b32 v5, v7, s7, v5
	v_sub_u32_e32 v11, 0x3f1, v9
	v_or_b32_e32 v7, 0x1000, v5
	v_med3_i32 v11, v11, 0, 13
	v_lshrrev_b32_e32 v16, v11, v7
	v_lshlrev_b32_e32 v11, v11, v16
	v_cmp_ne_u32_e32 vcc, v11, v7
	v_cndmask_b32_e64 v7, 0, 1, vcc
	v_add_u32_e32 v9, 0xfffffc10, v9
	v_or_b32_e32 v7, v16, v7
	v_lshl_or_b32 v11, v9, 12, v5
	v_cmp_gt_i32_e32 vcc, 1, v9
	v_cndmask_b32_e32 v7, v11, v7, vcc
	v_and_b32_e32 v11, 7, v7
	v_cmp_lt_i32_e32 vcc, 5, v11
	v_cmp_eq_u32_e64 s[0:1], 3, v11
	v_lshrrev_b32_e32 v11, 16, v8
	v_mul_f16_sdwa v16, v58, v11 dst_sel:DWORD dst_unused:UNUSED_PAD src0_sel:WORD_1 src1_sel:DWORD
	v_fma_f16 v16, v58, v8, v16
	v_cvt_f32_f16_e32 v16, v16
	v_lshrrev_b32_e32 v7, 2, v7
	s_or_b64 vcc, s[0:1], vcc
	v_addc_co_u32_e32 v7, vcc, 0, v7, vcc
	v_cvt_f64_f32_e32 v[16:17], v16
	v_cmp_gt_i32_e32 vcc, 31, v9
	v_cndmask_b32_e32 v7, v13, v7, vcc
	v_cmp_ne_u32_e32 vcc, 0, v5
	v_mul_f64 v[16:17], v[16:17], s[2:3]
	v_cndmask_b32_e64 v5, 0, 1, vcc
	v_lshl_or_b32 v5, v5, 9, v13
	v_cmp_eq_u32_e32 vcc, s10, v9
	v_cndmask_b32_e32 v5, v7, v5, vcc
	v_lshrrev_b32_e32 v7, 16, v19
	v_and_or_b32 v5, v7, s12, v5
	v_and_b32_e32 v0, 0xffff, v0
	v_lshl_or_b32 v0, v5, 16, v0
	v_mov_b32_e32 v5, s4
	v_add_co_u32_e32 v14, vcc, s5, v14
	v_addc_co_u32_e32 v15, vcc, v15, v5, vcc
	global_store_dword v[14:15], v0, off
	v_and_or_b32 v0, v17, s6, v16
	v_cmp_ne_u32_e32 vcc, 0, v0
	v_cndmask_b32_e64 v0, 0, 1, vcc
	v_lshrrev_b32_e32 v5, 8, v17
	v_bfe_u32 v7, v17, 20, 11
	v_and_or_b32 v0, v5, s7, v0
	v_sub_u32_e32 v9, 0x3f1, v7
	v_or_b32_e32 v5, 0x1000, v0
	v_med3_i32 v9, v9, 0, 13
	v_lshrrev_b32_e32 v16, v9, v5
	v_lshlrev_b32_e32 v9, v9, v16
	v_cmp_ne_u32_e32 vcc, v9, v5
	v_mul_f16_sdwa v8, v58, v8 dst_sel:DWORD dst_unused:UNUSED_PAD src0_sel:WORD_1 src1_sel:DWORD
	v_cndmask_b32_e64 v5, 0, 1, vcc
	v_fma_f16 v8, v58, v11, -v8
	v_or_b32_e32 v5, v16, v5
	v_add_u32_e32 v16, 0xfffffc10, v7
	v_cvt_f32_f16_e32 v8, v8
	v_lshl_or_b32 v7, v16, 12, v0
	v_cmp_gt_i32_e32 vcc, 1, v16
	v_cndmask_b32_e32 v5, v7, v5, vcc
	v_and_b32_e32 v7, 7, v5
	v_cmp_lt_i32_e32 vcc, 5, v7
	v_cmp_eq_u32_e64 s[0:1], 3, v7
	v_cvt_f64_f32_e32 v[7:8], v8
	v_lshrrev_b32_e32 v5, 2, v5
	s_or_b64 vcc, s[0:1], vcc
	v_addc_co_u32_e32 v5, vcc, 0, v5, vcc
	v_mul_f64 v[8:9], v[7:8], s[2:3]
	v_cmp_gt_i32_e32 vcc, 31, v16
	v_cndmask_b32_e32 v5, v13, v5, vcc
	v_cmp_ne_u32_e32 vcc, 0, v0
	v_cndmask_b32_e64 v0, 0, 1, vcc
	v_lshl_or_b32 v0, v0, 9, v13
	v_cmp_eq_u32_e32 vcc, s10, v16
	v_cndmask_b32_e32 v0, v5, v0, vcc
	v_lshrrev_b32_e32 v5, 16, v17
	v_and_or_b32 v0, v5, s12, v0
	v_and_or_b32 v5, v9, s6, v8
	v_cmp_ne_u32_e32 vcc, 0, v5
	v_cndmask_b32_e64 v5, 0, 1, vcc
	v_lshrrev_b32_e32 v7, 8, v9
	v_bfe_u32 v8, v9, 20, 11
	v_and_or_b32 v5, v7, s7, v5
	v_sub_u32_e32 v11, 0x3f1, v8
	v_or_b32_e32 v7, 0x1000, v5
	v_med3_i32 v11, v11, 0, 13
	v_lshrrev_b32_e32 v16, v11, v7
	v_lshlrev_b32_e32 v11, v11, v16
	v_cmp_ne_u32_e32 vcc, v11, v7
	v_cndmask_b32_e64 v7, 0, 1, vcc
	v_add_u32_e32 v11, 0xfffffc10, v8
	v_or_b32_e32 v7, v16, v7
	v_lshl_or_b32 v8, v11, 12, v5
	v_cmp_gt_i32_e32 vcc, 1, v11
	v_cndmask_b32_e32 v7, v8, v7, vcc
	v_and_b32_e32 v8, 7, v7
	v_cmp_lt_i32_e32 vcc, 5, v8
	v_cmp_eq_u32_e64 s[0:1], 3, v8
	v_lshrrev_b32_e32 v7, 2, v7
	s_or_b64 vcc, s[0:1], vcc
	v_addc_co_u32_e32 v16, vcc, 0, v7, vcc
	ds_read2st64_b32 v[7:8], v50 offset0:80 offset1:88
	v_cmp_gt_i32_e32 vcc, 31, v11
	v_cndmask_b32_e32 v16, v13, v16, vcc
	v_cmp_ne_u32_e32 vcc, 0, v5
	v_cndmask_b32_e64 v5, 0, 1, vcc
	s_waitcnt lgkmcnt(0)
	v_lshrrev_b32_e32 v18, 16, v7
	v_mul_f16_sdwa v17, v57, v18 dst_sel:DWORD dst_unused:UNUSED_PAD src0_sel:WORD_1 src1_sel:DWORD
	v_fma_f16 v17, v57, v7, v17
	v_cvt_f32_f16_e32 v17, v17
	v_lshl_or_b32 v5, v5, 9, v13
	v_cmp_eq_u32_e32 vcc, s10, v11
	v_cndmask_b32_e32 v5, v16, v5, vcc
	v_cvt_f64_f32_e32 v[16:17], v17
	v_lshrrev_b32_e32 v9, 16, v9
	v_and_or_b32 v5, v9, s12, v5
	v_and_b32_e32 v0, 0xffff, v0
	v_mul_f64 v[16:17], v[16:17], s[2:3]
	v_lshl_or_b32 v0, v5, 16, v0
	v_mov_b32_e32 v5, s4
	v_add_co_u32_e32 v14, vcc, s5, v14
	v_addc_co_u32_e32 v15, vcc, v15, v5, vcc
	global_store_dword v[14:15], v0, off
	v_and_or_b32 v0, v17, s6, v16
	v_cmp_ne_u32_e32 vcc, 0, v0
	v_cndmask_b32_e64 v0, 0, 1, vcc
	v_lshrrev_b32_e32 v5, 8, v17
	v_bfe_u32 v9, v17, 20, 11
	v_mul_f16_sdwa v7, v57, v7 dst_sel:DWORD dst_unused:UNUSED_PAD src0_sel:WORD_1 src1_sel:DWORD
	v_and_or_b32 v0, v5, s7, v0
	v_sub_u32_e32 v11, 0x3f1, v9
	v_fma_f16 v7, v57, v18, -v7
	v_or_b32_e32 v5, 0x1000, v0
	v_med3_i32 v11, v11, 0, 13
	v_cvt_f32_f16_e32 v7, v7
	v_lshrrev_b32_e32 v16, v11, v5
	v_lshlrev_b32_e32 v11, v11, v16
	v_cmp_ne_u32_e32 vcc, v11, v5
	v_cndmask_b32_e64 v5, 0, 1, vcc
	v_add_u32_e32 v9, 0xfffffc10, v9
	v_cvt_f64_f32_e32 v[18:19], v7
	v_or_b32_e32 v5, v16, v5
	v_lshl_or_b32 v11, v9, 12, v0
	v_cmp_gt_i32_e32 vcc, 1, v9
	v_cndmask_b32_e32 v5, v11, v5, vcc
	v_and_b32_e32 v11, 7, v5
	v_cmp_lt_i32_e32 vcc, 5, v11
	v_cmp_eq_u32_e64 s[0:1], 3, v11
	v_mul_f64 v[18:19], v[18:19], s[2:3]
	v_lshrrev_b32_e32 v5, 2, v5
	s_or_b64 vcc, s[0:1], vcc
	v_addc_co_u32_e32 v5, vcc, 0, v5, vcc
	v_cmp_gt_i32_e32 vcc, 31, v9
	v_cndmask_b32_e32 v5, v13, v5, vcc
	v_cmp_ne_u32_e32 vcc, 0, v0
	v_cndmask_b32_e64 v0, 0, 1, vcc
	v_lshl_or_b32 v0, v0, 9, v13
	v_cmp_eq_u32_e32 vcc, s10, v9
	v_cndmask_b32_e32 v0, v5, v0, vcc
	v_lshrrev_b32_e32 v5, 16, v17
	v_and_or_b32 v0, v5, s12, v0
	v_and_or_b32 v5, v19, s6, v18
	v_cmp_ne_u32_e32 vcc, 0, v5
	v_cndmask_b32_e64 v5, 0, 1, vcc
	v_lshrrev_b32_e32 v7, 8, v19
	v_bfe_u32 v9, v19, 20, 11
	v_and_or_b32 v5, v7, s7, v5
	v_sub_u32_e32 v11, 0x3f1, v9
	v_or_b32_e32 v7, 0x1000, v5
	v_med3_i32 v11, v11, 0, 13
	v_lshrrev_b32_e32 v16, v11, v7
	v_lshlrev_b32_e32 v11, v11, v16
	v_cmp_ne_u32_e32 vcc, v11, v7
	v_cndmask_b32_e64 v7, 0, 1, vcc
	v_add_u32_e32 v9, 0xfffffc10, v9
	v_or_b32_e32 v7, v16, v7
	v_lshl_or_b32 v11, v9, 12, v5
	v_cmp_gt_i32_e32 vcc, 1, v9
	v_cndmask_b32_e32 v7, v11, v7, vcc
	v_and_b32_e32 v11, 7, v7
	v_cmp_lt_i32_e32 vcc, 5, v11
	v_cmp_eq_u32_e64 s[0:1], 3, v11
	v_lshrrev_b32_e32 v11, 16, v10
	v_mul_f16_sdwa v16, v56, v11 dst_sel:DWORD dst_unused:UNUSED_PAD src0_sel:WORD_1 src1_sel:DWORD
	v_fma_f16 v16, v56, v10, v16
	v_cvt_f32_f16_e32 v16, v16
	v_lshrrev_b32_e32 v7, 2, v7
	s_or_b64 vcc, s[0:1], vcc
	v_addc_co_u32_e32 v7, vcc, 0, v7, vcc
	v_cvt_f64_f32_e32 v[16:17], v16
	v_cmp_gt_i32_e32 vcc, 31, v9
	v_cndmask_b32_e32 v7, v13, v7, vcc
	v_cmp_ne_u32_e32 vcc, 0, v5
	v_mul_f64 v[16:17], v[16:17], s[2:3]
	v_cndmask_b32_e64 v5, 0, 1, vcc
	v_lshl_or_b32 v5, v5, 9, v13
	v_cmp_eq_u32_e32 vcc, s10, v9
	v_cndmask_b32_e32 v5, v7, v5, vcc
	v_lshrrev_b32_e32 v7, 16, v19
	v_and_or_b32 v5, v7, s12, v5
	v_and_b32_e32 v0, 0xffff, v0
	v_lshl_or_b32 v0, v5, 16, v0
	v_mov_b32_e32 v5, s4
	v_add_co_u32_e32 v14, vcc, s5, v14
	v_addc_co_u32_e32 v15, vcc, v15, v5, vcc
	global_store_dword v[14:15], v0, off
	v_and_or_b32 v0, v17, s6, v16
	v_cmp_ne_u32_e32 vcc, 0, v0
	v_cndmask_b32_e64 v0, 0, 1, vcc
	v_lshrrev_b32_e32 v5, 8, v17
	v_bfe_u32 v7, v17, 20, 11
	v_and_or_b32 v0, v5, s7, v0
	v_sub_u32_e32 v9, 0x3f1, v7
	v_or_b32_e32 v5, 0x1000, v0
	v_med3_i32 v9, v9, 0, 13
	v_lshrrev_b32_e32 v16, v9, v5
	v_lshlrev_b32_e32 v9, v9, v16
	v_mul_f16_sdwa v10, v56, v10 dst_sel:DWORD dst_unused:UNUSED_PAD src0_sel:WORD_1 src1_sel:DWORD
	v_cmp_ne_u32_e32 vcc, v9, v5
	v_fma_f16 v10, v56, v11, -v10
	v_cndmask_b32_e64 v5, 0, 1, vcc
	v_add_u32_e32 v7, 0xfffffc10, v7
	v_cvt_f32_f16_e32 v10, v10
	v_or_b32_e32 v5, v16, v5
	v_lshl_or_b32 v9, v7, 12, v0
	v_cmp_gt_i32_e32 vcc, 1, v7
	v_cndmask_b32_e32 v5, v9, v5, vcc
	v_and_b32_e32 v9, 7, v5
	v_cmp_lt_i32_e32 vcc, 5, v9
	v_cmp_eq_u32_e64 s[0:1], 3, v9
	v_cvt_f64_f32_e32 v[9:10], v10
	v_lshrrev_b32_e32 v5, 2, v5
	s_or_b64 vcc, s[0:1], vcc
	v_addc_co_u32_e32 v5, vcc, 0, v5, vcc
	v_mul_f64 v[10:11], v[9:10], s[2:3]
	v_cmp_gt_i32_e32 vcc, 31, v7
	v_cndmask_b32_e32 v5, v13, v5, vcc
	v_cmp_ne_u32_e32 vcc, 0, v0
	v_cndmask_b32_e64 v0, 0, 1, vcc
	v_lshl_or_b32 v0, v0, 9, v13
	v_cmp_eq_u32_e32 vcc, s10, v7
	v_cndmask_b32_e32 v0, v5, v0, vcc
	v_lshrrev_b32_e32 v5, 16, v17
	v_and_or_b32 v0, v5, s12, v0
	v_and_or_b32 v5, v11, s6, v10
	v_cmp_ne_u32_e32 vcc, 0, v5
	v_cndmask_b32_e64 v5, 0, 1, vcc
	v_lshrrev_b32_e32 v7, 8, v11
	v_bfe_u32 v9, v11, 20, 11
	v_and_or_b32 v5, v7, s7, v5
	v_sub_u32_e32 v10, 0x3f1, v9
	v_or_b32_e32 v7, 0x1000, v5
	v_med3_i32 v10, v10, 0, 13
	v_lshrrev_b32_e32 v16, v10, v7
	v_lshlrev_b32_e32 v10, v10, v16
	v_cmp_ne_u32_e32 vcc, v10, v7
	v_cndmask_b32_e64 v7, 0, 1, vcc
	v_or_b32_e32 v7, v16, v7
	v_add_u32_e32 v16, 0xfffffc10, v9
	v_lshl_or_b32 v9, v16, 12, v5
	v_cmp_gt_i32_e32 vcc, 1, v16
	v_cndmask_b32_e32 v7, v9, v7, vcc
	v_and_b32_e32 v9, 7, v7
	v_cmp_lt_i32_e32 vcc, 5, v9
	v_cmp_eq_u32_e64 s[0:1], 3, v9
	ds_read2st64_b32 v[9:10], v50 offset0:128 offset1:136
	v_lshrrev_b32_e32 v7, 2, v7
	s_or_b64 vcc, s[0:1], vcc
	v_addc_co_u32_e32 v7, vcc, 0, v7, vcc
	s_waitcnt lgkmcnt(0)
	v_lshrrev_b32_e32 v18, 16, v9
	v_mul_f16_sdwa v17, v55, v18 dst_sel:DWORD dst_unused:UNUSED_PAD src0_sel:WORD_1 src1_sel:DWORD
	v_fma_f16 v17, v55, v9, v17
	v_cvt_f32_f16_e32 v17, v17
	v_cmp_gt_i32_e32 vcc, 31, v16
	v_cndmask_b32_e32 v7, v13, v7, vcc
	v_cmp_ne_u32_e32 vcc, 0, v5
	v_cndmask_b32_e64 v5, 0, 1, vcc
	v_cmp_eq_u32_e32 vcc, s10, v16
	v_cvt_f64_f32_e32 v[16:17], v17
	v_lshl_or_b32 v5, v5, 9, v13
	v_cndmask_b32_e32 v5, v7, v5, vcc
	v_lshrrev_b32_e32 v7, 16, v11
	v_mul_f64 v[16:17], v[16:17], s[2:3]
	v_and_or_b32 v5, v7, s12, v5
	v_and_b32_e32 v0, 0xffff, v0
	v_lshl_or_b32 v0, v5, 16, v0
	v_mov_b32_e32 v5, s4
	v_add_co_u32_e32 v14, vcc, s5, v14
	v_addc_co_u32_e32 v15, vcc, v15, v5, vcc
	global_store_dword v[14:15], v0, off
	v_and_or_b32 v0, v17, s6, v16
	v_cmp_ne_u32_e32 vcc, 0, v0
	v_cndmask_b32_e64 v0, 0, 1, vcc
	v_lshrrev_b32_e32 v5, 8, v17
	v_bfe_u32 v7, v17, 20, 11
	v_mul_f16_sdwa v9, v55, v9 dst_sel:DWORD dst_unused:UNUSED_PAD src0_sel:WORD_1 src1_sel:DWORD
	v_and_or_b32 v0, v5, s7, v0
	v_sub_u32_e32 v11, 0x3f1, v7
	v_fma_f16 v9, v55, v18, -v9
	v_or_b32_e32 v5, 0x1000, v0
	v_med3_i32 v11, v11, 0, 13
	v_cvt_f32_f16_e32 v9, v9
	v_lshrrev_b32_e32 v16, v11, v5
	v_lshlrev_b32_e32 v11, v11, v16
	v_cmp_ne_u32_e32 vcc, v11, v5
	v_cndmask_b32_e64 v5, 0, 1, vcc
	v_add_u32_e32 v7, 0xfffffc10, v7
	v_cvt_f64_f32_e32 v[18:19], v9
	v_or_b32_e32 v5, v16, v5
	v_lshl_or_b32 v11, v7, 12, v0
	v_cmp_gt_i32_e32 vcc, 1, v7
	v_cndmask_b32_e32 v5, v11, v5, vcc
	v_and_b32_e32 v11, 7, v5
	v_cmp_lt_i32_e32 vcc, 5, v11
	v_cmp_eq_u32_e64 s[0:1], 3, v11
	v_mul_f64 v[18:19], v[18:19], s[2:3]
	v_lshrrev_b32_e32 v5, 2, v5
	s_or_b64 vcc, s[0:1], vcc
	v_addc_co_u32_e32 v5, vcc, 0, v5, vcc
	v_cmp_gt_i32_e32 vcc, 31, v7
	v_cndmask_b32_e32 v5, v13, v5, vcc
	v_cmp_ne_u32_e32 vcc, 0, v0
	v_cndmask_b32_e64 v0, 0, 1, vcc
	v_lshl_or_b32 v0, v0, 9, v13
	v_cmp_eq_u32_e32 vcc, s10, v7
	v_cndmask_b32_e32 v0, v5, v0, vcc
	v_lshrrev_b32_e32 v5, 16, v17
	v_and_or_b32 v0, v5, s12, v0
	v_and_or_b32 v5, v19, s6, v18
	v_cmp_ne_u32_e32 vcc, 0, v5
	v_cndmask_b32_e64 v5, 0, 1, vcc
	v_lshrrev_b32_e32 v7, 8, v19
	v_bfe_u32 v9, v19, 20, 11
	v_and_or_b32 v5, v7, s7, v5
	v_sub_u32_e32 v11, 0x3f1, v9
	v_or_b32_e32 v7, 0x1000, v5
	v_med3_i32 v11, v11, 0, 13
	v_lshrrev_b32_e32 v16, v11, v7
	v_lshlrev_b32_e32 v11, v11, v16
	v_cmp_ne_u32_e32 vcc, v11, v7
	v_cndmask_b32_e64 v7, 0, 1, vcc
	v_add_u32_e32 v9, 0xfffffc10, v9
	v_or_b32_e32 v7, v16, v7
	v_lshl_or_b32 v11, v9, 12, v5
	v_cmp_gt_i32_e32 vcc, 1, v9
	v_cndmask_b32_e32 v7, v11, v7, vcc
	v_and_b32_e32 v11, 7, v7
	v_cmp_lt_i32_e32 vcc, 5, v11
	v_cmp_eq_u32_e64 s[0:1], 3, v11
	v_lshrrev_b32_e32 v11, 16, v12
	v_mul_f16_sdwa v16, v54, v11 dst_sel:DWORD dst_unused:UNUSED_PAD src0_sel:WORD_1 src1_sel:DWORD
	v_fma_f16 v16, v54, v12, v16
	v_cvt_f32_f16_e32 v16, v16
	v_lshrrev_b32_e32 v7, 2, v7
	s_or_b64 vcc, s[0:1], vcc
	v_addc_co_u32_e32 v7, vcc, 0, v7, vcc
	v_cvt_f64_f32_e32 v[16:17], v16
	v_cmp_gt_i32_e32 vcc, 31, v9
	v_cndmask_b32_e32 v7, v13, v7, vcc
	v_cmp_ne_u32_e32 vcc, 0, v5
	v_mul_f64 v[16:17], v[16:17], s[2:3]
	v_cndmask_b32_e64 v5, 0, 1, vcc
	v_lshl_or_b32 v5, v5, 9, v13
	v_cmp_eq_u32_e32 vcc, s10, v9
	v_cndmask_b32_e32 v5, v7, v5, vcc
	v_lshrrev_b32_e32 v7, 16, v19
	v_and_or_b32 v5, v7, s12, v5
	v_and_b32_e32 v0, 0xffff, v0
	v_lshl_or_b32 v0, v5, 16, v0
	v_mov_b32_e32 v5, s4
	v_add_co_u32_e32 v14, vcc, s5, v14
	v_addc_co_u32_e32 v15, vcc, v15, v5, vcc
	global_store_dword v[14:15], v0, off
	v_and_or_b32 v0, v17, s6, v16
	v_cmp_ne_u32_e32 vcc, 0, v0
	v_cndmask_b32_e64 v0, 0, 1, vcc
	v_lshrrev_b32_e32 v5, 8, v17
	v_bfe_u32 v7, v17, 20, 11
	v_mul_f16_sdwa v12, v54, v12 dst_sel:DWORD dst_unused:UNUSED_PAD src0_sel:WORD_1 src1_sel:DWORD
	v_and_or_b32 v0, v5, s7, v0
	v_sub_u32_e32 v9, 0x3f1, v7
	v_fma_f16 v11, v54, v11, -v12
	v_or_b32_e32 v5, 0x1000, v0
	v_med3_i32 v9, v9, 0, 13
	v_cvt_f32_f16_e32 v11, v11
	v_lshrrev_b32_e32 v16, v9, v5
	v_lshlrev_b32_e32 v9, v9, v16
	v_cmp_ne_u32_e32 vcc, v9, v5
	v_cndmask_b32_e64 v5, 0, 1, vcc
	v_add_u32_e32 v7, 0xfffffc10, v7
	v_cvt_f64_f32_e32 v[11:12], v11
	v_or_b32_e32 v5, v16, v5
	v_lshl_or_b32 v9, v7, 12, v0
	v_cmp_gt_i32_e32 vcc, 1, v7
	v_cndmask_b32_e32 v5, v9, v5, vcc
	v_and_b32_e32 v9, 7, v5
	v_cmp_lt_i32_e32 vcc, 5, v9
	v_cmp_eq_u32_e64 s[0:1], 3, v9
	v_mul_f64 v[18:19], v[11:12], s[2:3]
	v_lshrrev_b32_e32 v5, 2, v5
	s_or_b64 vcc, s[0:1], vcc
	v_addc_co_u32_e32 v5, vcc, 0, v5, vcc
	v_cmp_gt_i32_e32 vcc, 31, v7
	v_cndmask_b32_e32 v5, v13, v5, vcc
	v_cmp_ne_u32_e32 vcc, 0, v0
	v_cndmask_b32_e64 v0, 0, 1, vcc
	v_lshl_or_b32 v0, v0, 9, v13
	v_cmp_eq_u32_e32 vcc, s10, v7
	v_cndmask_b32_e32 v0, v5, v0, vcc
	v_lshrrev_b32_e32 v5, 16, v17
	v_and_or_b32 v0, v5, s12, v0
	v_and_or_b32 v5, v19, s6, v18
	v_cmp_ne_u32_e32 vcc, 0, v5
	v_cndmask_b32_e64 v5, 0, 1, vcc
	v_lshrrev_b32_e32 v7, 8, v19
	v_bfe_u32 v9, v19, 20, 11
	v_and_or_b32 v5, v7, s7, v5
	v_sub_u32_e32 v11, 0x3f1, v9
	v_or_b32_e32 v7, 0x1000, v5
	v_med3_i32 v11, v11, 0, 13
	v_lshrrev_b32_e32 v12, v11, v7
	v_lshlrev_b32_e32 v11, v11, v12
	v_cmp_ne_u32_e32 vcc, v11, v7
	v_cndmask_b32_e64 v7, 0, 1, vcc
	v_add_u32_e32 v9, 0xfffffc10, v9
	v_or_b32_e32 v7, v12, v7
	v_lshl_or_b32 v11, v9, 12, v5
	v_cmp_gt_i32_e32 vcc, 1, v9
	v_cndmask_b32_e32 v7, v11, v7, vcc
	v_and_b32_e32 v11, 7, v7
	v_cmp_lt_i32_e32 vcc, 5, v11
	v_cmp_eq_u32_e64 s[0:1], 3, v11
	ds_read2st64_b32 v[11:12], v50 offset0:176 offset1:184
	v_lshrrev_b32_e32 v7, 2, v7
	s_or_b64 vcc, s[0:1], vcc
	v_addc_co_u32_e32 v7, vcc, 0, v7, vcc
	s_waitcnt lgkmcnt(0)
	v_lshrrev_b32_e32 v18, 16, v11
	v_mul_f16_sdwa v16, v53, v18 dst_sel:DWORD dst_unused:UNUSED_PAD src0_sel:WORD_1 src1_sel:DWORD
	v_fma_f16 v16, v53, v11, v16
	v_cvt_f32_f16_e32 v16, v16
	v_cmp_gt_i32_e32 vcc, 31, v9
	v_cndmask_b32_e32 v7, v13, v7, vcc
	v_cmp_ne_u32_e32 vcc, 0, v5
	v_cvt_f64_f32_e32 v[16:17], v16
	v_cndmask_b32_e64 v5, 0, 1, vcc
	v_lshl_or_b32 v5, v5, 9, v13
	v_cmp_eq_u32_e32 vcc, s10, v9
	v_mul_f64 v[16:17], v[16:17], s[2:3]
	v_cndmask_b32_e32 v5, v7, v5, vcc
	v_lshrrev_b32_e32 v7, 16, v19
	v_and_or_b32 v5, v7, s12, v5
	v_and_b32_e32 v0, 0xffff, v0
	v_lshl_or_b32 v0, v5, 16, v0
	v_mov_b32_e32 v5, s4
	v_add_co_u32_e32 v14, vcc, s5, v14
	v_addc_co_u32_e32 v15, vcc, v15, v5, vcc
	global_store_dword v[14:15], v0, off
	v_and_or_b32 v0, v17, s6, v16
	v_cmp_ne_u32_e32 vcc, 0, v0
	v_cndmask_b32_e64 v0, 0, 1, vcc
	v_lshrrev_b32_e32 v5, 8, v17
	v_bfe_u32 v7, v17, 20, 11
	v_mul_f16_sdwa v11, v53, v11 dst_sel:DWORD dst_unused:UNUSED_PAD src0_sel:WORD_1 src1_sel:DWORD
	v_and_or_b32 v0, v5, s7, v0
	v_sub_u32_e32 v9, 0x3f1, v7
	v_fma_f16 v11, v53, v18, -v11
	v_or_b32_e32 v5, 0x1000, v0
	v_med3_i32 v9, v9, 0, 13
	v_cvt_f32_f16_e32 v11, v11
	v_lshrrev_b32_e32 v16, v9, v5
	v_lshlrev_b32_e32 v9, v9, v16
	v_cmp_ne_u32_e32 vcc, v9, v5
	v_cndmask_b32_e64 v5, 0, 1, vcc
	v_add_u32_e32 v7, 0xfffffc10, v7
	v_cvt_f64_f32_e32 v[18:19], v11
	v_or_b32_e32 v5, v16, v5
	v_lshl_or_b32 v9, v7, 12, v0
	v_cmp_gt_i32_e32 vcc, 1, v7
	v_cndmask_b32_e32 v5, v9, v5, vcc
	v_and_b32_e32 v9, 7, v5
	v_cmp_lt_i32_e32 vcc, 5, v9
	v_cmp_eq_u32_e64 s[0:1], 3, v9
	v_mul_f64 v[18:19], v[18:19], s[2:3]
	v_lshrrev_b32_e32 v5, 2, v5
	s_or_b64 vcc, s[0:1], vcc
	v_addc_co_u32_e32 v5, vcc, 0, v5, vcc
	v_cmp_gt_i32_e32 vcc, 31, v7
	v_cndmask_b32_e32 v5, v13, v5, vcc
	v_cmp_ne_u32_e32 vcc, 0, v0
	v_cndmask_b32_e64 v0, 0, 1, vcc
	v_lshl_or_b32 v0, v0, 9, v13
	v_cmp_eq_u32_e32 vcc, s10, v7
	v_cndmask_b32_e32 v0, v5, v0, vcc
	v_lshrrev_b32_e32 v5, 16, v17
	v_and_or_b32 v0, v5, s12, v0
	v_and_or_b32 v5, v19, s6, v18
	v_cmp_ne_u32_e32 vcc, 0, v5
	v_cndmask_b32_e64 v5, 0, 1, vcc
	v_lshrrev_b32_e32 v7, 8, v19
	v_bfe_u32 v9, v19, 20, 11
	v_and_or_b32 v5, v7, s7, v5
	v_sub_u32_e32 v11, 0x3f1, v9
	v_or_b32_e32 v7, 0x1000, v5
	v_med3_i32 v11, v11, 0, 13
	v_lshrrev_b32_e32 v16, v11, v7
	v_lshlrev_b32_e32 v11, v11, v16
	v_cmp_ne_u32_e32 vcc, v11, v7
	v_cndmask_b32_e64 v7, 0, 1, vcc
	v_add_u32_e32 v9, 0xfffffc10, v9
	v_or_b32_e32 v7, v16, v7
	v_lshl_or_b32 v11, v9, 12, v5
	v_cmp_gt_i32_e32 vcc, 1, v9
	v_cndmask_b32_e32 v7, v11, v7, vcc
	v_and_b32_e32 v11, 7, v7
	v_cmp_lt_i32_e32 vcc, 5, v11
	v_cmp_eq_u32_e64 s[0:1], 3, v11
	v_lshrrev_b32_e32 v11, 16, v1
	v_mul_f16_sdwa v16, v52, v11 dst_sel:DWORD dst_unused:UNUSED_PAD src0_sel:WORD_1 src1_sel:DWORD
	v_fma_f16 v16, v52, v1, v16
	v_cvt_f32_f16_e32 v16, v16
	v_lshrrev_b32_e32 v7, 2, v7
	s_or_b64 vcc, s[0:1], vcc
	v_addc_co_u32_e32 v7, vcc, 0, v7, vcc
	v_cvt_f64_f32_e32 v[16:17], v16
	v_cmp_gt_i32_e32 vcc, 31, v9
	v_cndmask_b32_e32 v7, v13, v7, vcc
	v_cmp_ne_u32_e32 vcc, 0, v5
	v_mul_f64 v[16:17], v[16:17], s[2:3]
	v_cndmask_b32_e64 v5, 0, 1, vcc
	v_lshl_or_b32 v5, v5, 9, v13
	v_cmp_eq_u32_e32 vcc, s10, v9
	v_cndmask_b32_e32 v5, v7, v5, vcc
	v_lshrrev_b32_e32 v7, 16, v19
	v_and_or_b32 v5, v7, s12, v5
	v_and_b32_e32 v0, 0xffff, v0
	v_lshl_or_b32 v0, v5, 16, v0
	v_mov_b32_e32 v5, s4
	v_add_co_u32_e32 v14, vcc, s5, v14
	v_addc_co_u32_e32 v15, vcc, v15, v5, vcc
	global_store_dword v[14:15], v0, off
	v_and_or_b32 v0, v17, s6, v16
	v_cmp_ne_u32_e32 vcc, 0, v0
	v_cndmask_b32_e64 v0, 0, 1, vcc
	v_lshrrev_b32_e32 v5, 8, v17
	v_bfe_u32 v7, v17, 20, 11
	v_and_or_b32 v5, v5, s7, v0
	v_sub_u32_e32 v9, 0x3f1, v7
	v_or_b32_e32 v0, 0x1000, v5
	v_med3_i32 v9, v9, 0, 13
	v_lshrrev_b32_e32 v16, v9, v0
	v_lshlrev_b32_e32 v9, v9, v16
	v_mul_f16_sdwa v1, v52, v1 dst_sel:DWORD dst_unused:UNUSED_PAD src0_sel:WORD_1 src1_sel:DWORD
	v_cmp_ne_u32_e32 vcc, v9, v0
	v_fma_f16 v1, v52, v11, -v1
	v_cndmask_b32_e64 v0, 0, 1, vcc
	v_add_u32_e32 v7, 0xfffffc10, v7
	v_cvt_f32_f16_e32 v1, v1
	v_or_b32_e32 v0, v16, v0
	v_lshl_or_b32 v9, v7, 12, v5
	v_cmp_gt_i32_e32 vcc, 1, v7
	v_cndmask_b32_e32 v0, v9, v0, vcc
	v_and_b32_e32 v9, 7, v0
	v_cmp_lt_i32_e32 vcc, 5, v9
	v_cmp_eq_u32_e64 s[0:1], 3, v9
	v_lshrrev_b32_e32 v9, 2, v0
	v_cvt_f64_f32_e32 v[0:1], v1
	s_or_b64 vcc, s[0:1], vcc
	v_addc_co_u32_e32 v9, vcc, 0, v9, vcc
	v_mul_f64 v[0:1], v[0:1], s[2:3]
	v_cmp_gt_i32_e32 vcc, 31, v7
	v_cndmask_b32_e32 v9, v13, v9, vcc
	v_cmp_ne_u32_e32 vcc, 0, v5
	v_cndmask_b32_e64 v5, 0, 1, vcc
	v_lshl_or_b32 v5, v5, 9, v13
	v_cmp_eq_u32_e32 vcc, s10, v7
	v_cndmask_b32_e32 v5, v9, v5, vcc
	v_and_or_b32 v0, v1, s6, v0
	v_lshrrev_b32_e32 v7, 16, v17
	v_cmp_ne_u32_e32 vcc, 0, v0
	v_and_or_b32 v5, v7, s12, v5
	v_cndmask_b32_e64 v0, 0, 1, vcc
	v_lshrrev_b32_e32 v7, 8, v1
	v_bfe_u32 v9, v1, 20, 11
	v_and_or_b32 v0, v7, s7, v0
	v_sub_u32_e32 v11, 0x3f1, v9
	v_or_b32_e32 v7, 0x1000, v0
	v_med3_i32 v11, v11, 0, 13
	v_lshrrev_b32_e32 v16, v11, v7
	v_lshlrev_b32_e32 v11, v11, v16
	v_cmp_ne_u32_e32 vcc, v11, v7
	v_cndmask_b32_e64 v7, 0, 1, vcc
	v_add_u32_e32 v9, 0xfffffc10, v9
	v_or_b32_e32 v7, v16, v7
	v_lshl_or_b32 v11, v9, 12, v0
	v_cmp_gt_i32_e32 vcc, 1, v9
	v_cndmask_b32_e32 v7, v11, v7, vcc
	v_and_b32_e32 v11, 7, v7
	v_cmp_lt_i32_e32 vcc, 5, v11
	v_cmp_eq_u32_e64 s[0:1], 3, v11
	v_lshrrev_b32_e32 v11, 16, v6
	v_mul_f16_sdwa v16, v51, v11 dst_sel:DWORD dst_unused:UNUSED_PAD src0_sel:WORD_1 src1_sel:DWORD
	v_fma_f16 v16, v51, v6, v16
	v_cvt_f32_f16_e32 v16, v16
	v_lshrrev_b32_e32 v7, 2, v7
	s_or_b64 vcc, s[0:1], vcc
	v_addc_co_u32_e32 v7, vcc, 0, v7, vcc
	v_cmp_gt_i32_e32 vcc, 31, v9
	v_cvt_f64_f32_e32 v[16:17], v16
	v_cndmask_b32_e32 v7, v13, v7, vcc
	v_cmp_ne_u32_e32 vcc, 0, v0
	v_cndmask_b32_e64 v0, 0, 1, vcc
	v_lshl_or_b32 v0, v0, 9, v13
	v_cmp_eq_u32_e32 vcc, s10, v9
	v_cndmask_b32_e32 v7, v7, v0, vcc
	v_lshrrev_b32_e32 v9, 16, v1
	v_mul_f64 v[0:1], v[16:17], s[2:3]
	v_mad_u64_u32 v[14:15], s[0:1], s8, v20, v[14:15]
	v_and_or_b32 v7, v9, s12, v7
	v_and_b32_e32 v5, 0xffff, v5
	v_lshl_or_b32 v5, v7, 16, v5
	v_add_u32_e32 v15, s9, v15
	global_store_dword v[14:15], v5, off
	v_and_or_b32 v0, v1, s6, v0
	v_cmp_ne_u32_e32 vcc, 0, v0
	v_cndmask_b32_e64 v0, 0, 1, vcc
	v_lshrrev_b32_e32 v5, 8, v1
	v_bfe_u32 v7, v1, 20, 11
	v_and_or_b32 v0, v5, s7, v0
	v_sub_u32_e32 v9, 0x3f1, v7
	v_or_b32_e32 v5, 0x1000, v0
	v_med3_i32 v9, v9, 0, 13
	v_lshrrev_b32_e32 v16, v9, v5
	v_lshlrev_b32_e32 v9, v9, v16
	v_mul_f16_sdwa v6, v51, v6 dst_sel:DWORD dst_unused:UNUSED_PAD src0_sel:WORD_1 src1_sel:DWORD
	v_cmp_ne_u32_e32 vcc, v9, v5
	v_fma_f16 v6, v51, v11, -v6
	v_cndmask_b32_e64 v5, 0, 1, vcc
	v_add_u32_e32 v7, 0xfffffc10, v7
	v_cvt_f32_f16_e32 v6, v6
	v_or_b32_e32 v5, v16, v5
	v_lshl_or_b32 v9, v7, 12, v0
	v_cmp_gt_i32_e32 vcc, 1, v7
	v_cndmask_b32_e32 v5, v9, v5, vcc
	v_and_b32_e32 v9, 7, v5
	v_cmp_lt_i32_e32 vcc, 5, v9
	v_cmp_eq_u32_e64 s[0:1], 3, v9
	v_lshrrev_b32_e32 v9, 2, v5
	v_cvt_f64_f32_e32 v[5:6], v6
	s_or_b64 vcc, s[0:1], vcc
	v_addc_co_u32_e32 v9, vcc, 0, v9, vcc
	v_mul_f64 v[5:6], v[5:6], s[2:3]
	v_cmp_gt_i32_e32 vcc, 31, v7
	v_cndmask_b32_e32 v9, v13, v9, vcc
	v_cmp_ne_u32_e32 vcc, 0, v0
	v_cndmask_b32_e64 v0, 0, 1, vcc
	v_lshl_or_b32 v0, v0, 9, v13
	v_cmp_eq_u32_e32 vcc, s10, v7
	v_cndmask_b32_e32 v0, v9, v0, vcc
	v_lshrrev_b32_e32 v1, 16, v1
	v_and_or_b32 v7, v1, s12, v0
	v_and_or_b32 v0, v6, s6, v5
	v_cmp_ne_u32_e32 vcc, 0, v0
	v_cndmask_b32_e64 v0, 0, 1, vcc
	v_lshrrev_b32_e32 v1, 8, v6
	v_bfe_u32 v5, v6, 20, 11
	v_and_or_b32 v0, v1, s7, v0
	v_sub_u32_e32 v9, 0x3f1, v5
	v_or_b32_e32 v1, 0x1000, v0
	v_med3_i32 v9, v9, 0, 13
	v_lshrrev_b32_e32 v11, v9, v1
	v_lshlrev_b32_e32 v9, v9, v11
	v_cmp_ne_u32_e32 vcc, v9, v1
	v_cndmask_b32_e64 v1, 0, 1, vcc
	v_add_u32_e32 v5, 0xfffffc10, v5
	v_or_b32_e32 v1, v11, v1
	v_lshl_or_b32 v9, v5, 12, v0
	v_cmp_gt_i32_e32 vcc, 1, v5
	v_cndmask_b32_e32 v1, v9, v1, vcc
	v_and_b32_e32 v9, 7, v1
	v_cmp_lt_i32_e32 vcc, 5, v9
	v_cmp_eq_u32_e64 s[0:1], 3, v9
	v_lshrrev_b32_e32 v9, 16, v2
	v_lshrrev_b32_e32 v1, 2, v1
	s_or_b64 vcc, s[0:1], vcc
	v_mul_f16_sdwa v11, v49, v9 dst_sel:DWORD dst_unused:UNUSED_PAD src0_sel:WORD_1 src1_sel:DWORD
	v_addc_co_u32_e32 v1, vcc, 0, v1, vcc
	v_fma_f16 v11, v49, v2, v11
	v_cmp_gt_i32_e32 vcc, 31, v5
	v_cvt_f32_f16_e32 v11, v11
	v_cndmask_b32_e32 v1, v13, v1, vcc
	v_cmp_ne_u32_e32 vcc, 0, v0
	v_cndmask_b32_e64 v0, 0, 1, vcc
	v_lshl_or_b32 v0, v0, 9, v13
	v_cmp_eq_u32_e32 vcc, s10, v5
	v_cndmask_b32_e32 v5, v1, v0, vcc
	v_cvt_f64_f32_e32 v[0:1], v11
	v_lshrrev_b32_e32 v6, 16, v6
	v_and_or_b32 v5, v6, s12, v5
	v_and_b32_e32 v6, 0xffff, v7
	v_mul_f64 v[0:1], v[0:1], s[2:3]
	v_lshl_or_b32 v7, v5, 16, v6
	v_mov_b32_e32 v6, s4
	v_add_co_u32_e32 v5, vcc, s5, v14
	v_addc_co_u32_e32 v6, vcc, v15, v6, vcc
	global_store_dword v[5:6], v7, off
	v_and_or_b32 v0, v1, s6, v0
	v_cmp_ne_u32_e32 vcc, 0, v0
	v_cndmask_b32_e64 v0, 0, 1, vcc
	v_lshrrev_b32_e32 v7, 8, v1
	v_bfe_u32 v11, v1, 20, 11
	v_and_or_b32 v0, v7, s7, v0
	v_sub_u32_e32 v14, 0x3f1, v11
	v_or_b32_e32 v7, 0x1000, v0
	v_med3_i32 v14, v14, 0, 13
	v_lshrrev_b32_e32 v15, v14, v7
	v_lshlrev_b32_e32 v14, v14, v15
	v_mul_f16_sdwa v2, v49, v2 dst_sel:DWORD dst_unused:UNUSED_PAD src0_sel:WORD_1 src1_sel:DWORD
	v_cmp_ne_u32_e32 vcc, v14, v7
	v_fma_f16 v2, v49, v9, -v2
	v_cndmask_b32_e64 v7, 0, 1, vcc
	v_add_u32_e32 v11, 0xfffffc10, v11
	v_cvt_f32_f16_e32 v2, v2
	v_or_b32_e32 v7, v15, v7
	v_lshl_or_b32 v14, v11, 12, v0
	v_cmp_gt_i32_e32 vcc, 1, v11
	v_cndmask_b32_e32 v7, v14, v7, vcc
	v_and_b32_e32 v14, 7, v7
	v_cmp_lt_i32_e32 vcc, 5, v14
	v_cmp_eq_u32_e64 s[0:1], 3, v14
	v_cvt_f64_f32_e32 v[14:15], v2
	v_lshrrev_b32_e32 v7, 2, v7
	s_or_b64 vcc, s[0:1], vcc
	v_addc_co_u32_e32 v2, vcc, 0, v7, vcc
	v_mul_f64 v[14:15], v[14:15], s[2:3]
	v_cmp_gt_i32_e32 vcc, 31, v11
	v_cndmask_b32_e32 v2, v13, v2, vcc
	v_cmp_ne_u32_e32 vcc, 0, v0
	v_cndmask_b32_e64 v0, 0, 1, vcc
	v_lshl_or_b32 v0, v0, 9, v13
	v_cmp_eq_u32_e32 vcc, s10, v11
	v_cndmask_b32_e32 v0, v2, v0, vcc
	v_lshrrev_b32_e32 v1, 16, v1
	v_and_or_b32 v2, v1, s12, v0
	v_and_or_b32 v0, v15, s6, v14
	buffer_load_dword v14, off, s[20:23], 0 offset:16 ; 4-byte Folded Reload
	v_cmp_ne_u32_e32 vcc, 0, v0
	v_cndmask_b32_e64 v0, 0, 1, vcc
	v_lshrrev_b32_e32 v1, 8, v15
	v_bfe_u32 v7, v15, 20, 11
	v_and_or_b32 v0, v1, s7, v0
	v_sub_u32_e32 v9, 0x3f1, v7
	v_or_b32_e32 v1, 0x1000, v0
	v_med3_i32 v9, v9, 0, 13
	v_lshrrev_b32_e32 v11, v9, v1
	v_lshlrev_b32_e32 v9, v9, v11
	v_cmp_ne_u32_e32 vcc, v9, v1
	v_cndmask_b32_e64 v1, 0, 1, vcc
	v_add_u32_e32 v7, 0xfffffc10, v7
	v_or_b32_e32 v1, v11, v1
	v_lshl_or_b32 v9, v7, 12, v0
	v_cmp_gt_i32_e32 vcc, 1, v7
	v_cndmask_b32_e32 v1, v9, v1, vcc
	v_and_b32_e32 v9, 7, v1
	v_cmp_lt_i32_e32 vcc, 5, v9
	v_cmp_eq_u32_e64 s[0:1], 3, v9
	v_lshrrev_b32_e32 v9, 16, v8
	v_lshrrev_b32_e32 v1, 2, v1
	s_or_b64 vcc, s[0:1], vcc
	v_addc_co_u32_e32 v1, vcc, 0, v1, vcc
	v_cmp_gt_i32_e32 vcc, 31, v7
	v_cndmask_b32_e32 v1, v13, v1, vcc
	v_cmp_ne_u32_e32 vcc, 0, v0
	v_cndmask_b32_e64 v0, 0, 1, vcc
	v_lshl_or_b32 v0, v0, 9, v13
	v_cmp_eq_u32_e32 vcc, s10, v7
	v_cndmask_b32_e32 v7, v1, v0, vcc
	v_and_b32_e32 v2, 0xffff, v2
	v_add_co_u32_e32 v5, vcc, s5, v5
	s_waitcnt vmcnt(0)
	v_mul_f16_sdwa v11, v14, v9 dst_sel:DWORD dst_unused:UNUSED_PAD src0_sel:WORD_1 src1_sel:DWORD
	v_fma_f16 v11, v14, v8, v11
	v_cvt_f32_f16_e32 v11, v11
	v_mov_b32_e32 v16, v14
	v_mul_f16_sdwa v8, v16, v8 dst_sel:DWORD dst_unused:UNUSED_PAD src0_sel:WORD_1 src1_sel:DWORD
	v_fma_f16 v8, v16, v9, -v8
	v_cvt_f64_f32_e32 v[0:1], v11
	v_lshrrev_b32_e32 v11, 16, v15
	v_and_or_b32 v7, v11, s12, v7
	v_lshl_or_b32 v2, v7, 16, v2
	v_mul_f64 v[0:1], v[0:1], s[2:3]
	v_mov_b32_e32 v7, s4
	v_addc_co_u32_e32 v6, vcc, v6, v7, vcc
	global_store_dword v[5:6], v2, off
	v_cvt_f32_f16_e32 v8, v8
	v_and_or_b32 v0, v1, s6, v0
	v_cmp_ne_u32_e32 vcc, 0, v0
	v_cndmask_b32_e64 v0, 0, 1, vcc
	v_lshrrev_b32_e32 v2, 8, v1
	v_bfe_u32 v7, v1, 20, 11
	v_and_or_b32 v0, v2, s7, v0
	v_sub_u32_e32 v11, 0x3f1, v7
	v_or_b32_e32 v2, 0x1000, v0
	v_med3_i32 v11, v11, 0, 13
	v_lshrrev_b32_e32 v14, v11, v2
	v_lshlrev_b32_e32 v11, v11, v14
	v_cmp_ne_u32_e32 vcc, v11, v2
	v_cndmask_b32_e64 v2, 0, 1, vcc
	v_or_b32_e32 v2, v14, v2
	buffer_load_dword v14, off, s[20:23], 0 offset:12 ; 4-byte Folded Reload
	v_add_u32_e32 v11, 0xfffffc10, v7
	v_lshl_or_b32 v7, v11, 12, v0
	v_cmp_gt_i32_e32 vcc, 1, v11
	v_cndmask_b32_e32 v2, v7, v2, vcc
	v_and_b32_e32 v7, 7, v2
	v_cmp_lt_i32_e32 vcc, 5, v7
	v_cmp_eq_u32_e64 s[0:1], 3, v7
	v_cvt_f64_f32_e32 v[7:8], v8
	v_lshrrev_b32_e32 v2, 2, v2
	s_or_b64 vcc, s[0:1], vcc
	v_addc_co_u32_e32 v2, vcc, 0, v2, vcc
	v_mul_f64 v[7:8], v[7:8], s[2:3]
	v_cmp_gt_i32_e32 vcc, 31, v11
	v_cndmask_b32_e32 v2, v13, v2, vcc
	v_cmp_ne_u32_e32 vcc, 0, v0
	v_cndmask_b32_e64 v0, 0, 1, vcc
	v_lshl_or_b32 v0, v0, 9, v13
	v_cmp_eq_u32_e32 vcc, s10, v11
	v_cndmask_b32_e32 v0, v2, v0, vcc
	v_lshrrev_b32_e32 v1, 16, v1
	v_and_or_b32 v2, v1, s12, v0
	v_and_or_b32 v0, v8, s6, v7
	v_cmp_ne_u32_e32 vcc, 0, v0
	v_cndmask_b32_e64 v0, 0, 1, vcc
	v_lshrrev_b32_e32 v1, 8, v8
	v_bfe_u32 v7, v8, 20, 11
	v_and_or_b32 v0, v1, s7, v0
	v_sub_u32_e32 v9, 0x3f1, v7
	v_or_b32_e32 v1, 0x1000, v0
	v_med3_i32 v9, v9, 0, 13
	v_lshrrev_b32_e32 v11, v9, v1
	v_lshlrev_b32_e32 v9, v9, v11
	v_cmp_ne_u32_e32 vcc, v9, v1
	v_cndmask_b32_e64 v1, 0, 1, vcc
	v_add_u32_e32 v7, 0xfffffc10, v7
	v_or_b32_e32 v1, v11, v1
	v_lshl_or_b32 v9, v7, 12, v0
	v_cmp_gt_i32_e32 vcc, 1, v7
	v_cndmask_b32_e32 v1, v9, v1, vcc
	v_and_b32_e32 v9, 7, v1
	v_cmp_lt_i32_e32 vcc, 5, v9
	v_cmp_eq_u32_e64 s[0:1], 3, v9
	v_lshrrev_b32_e32 v9, 16, v3
	v_lshrrev_b32_e32 v1, 2, v1
	s_or_b64 vcc, s[0:1], vcc
	v_addc_co_u32_e32 v1, vcc, 0, v1, vcc
	v_cmp_gt_i32_e32 vcc, 31, v7
	v_cndmask_b32_e32 v1, v13, v1, vcc
	v_cmp_ne_u32_e32 vcc, 0, v0
	v_cndmask_b32_e64 v0, 0, 1, vcc
	v_lshl_or_b32 v0, v0, 9, v13
	v_cmp_eq_u32_e32 vcc, s10, v7
	v_cndmask_b32_e32 v7, v1, v0, vcc
	v_lshrrev_b32_e32 v8, 16, v8
	v_and_or_b32 v7, v8, s12, v7
	v_and_b32_e32 v2, 0xffff, v2
	v_lshl_or_b32 v2, v7, 16, v2
	v_mov_b32_e32 v7, s4
	v_add_co_u32_e32 v5, vcc, s5, v5
	v_addc_co_u32_e32 v6, vcc, v6, v7, vcc
	global_store_dword v[5:6], v2, off
	s_waitcnt vmcnt(1)
	v_mul_f16_sdwa v11, v14, v9 dst_sel:DWORD dst_unused:UNUSED_PAD src0_sel:WORD_1 src1_sel:DWORD
	v_fma_f16 v11, v14, v3, v11
	v_cvt_f32_f16_e32 v11, v11
	v_mul_f16_sdwa v3, v14, v3 dst_sel:DWORD dst_unused:UNUSED_PAD src0_sel:WORD_1 src1_sel:DWORD
	v_fma_f16 v3, v14, v9, -v3
	v_cvt_f32_f16_e32 v3, v3
	v_cvt_f64_f32_e32 v[0:1], v11
	v_mul_f64 v[0:1], v[0:1], s[2:3]
	v_and_or_b32 v0, v1, s6, v0
	v_cmp_ne_u32_e32 vcc, 0, v0
	v_cndmask_b32_e64 v0, 0, 1, vcc
	v_lshrrev_b32_e32 v2, 8, v1
	v_bfe_u32 v7, v1, 20, 11
	v_and_or_b32 v0, v2, s7, v0
	v_sub_u32_e32 v8, 0x3f1, v7
	v_or_b32_e32 v2, 0x1000, v0
	v_med3_i32 v8, v8, 0, 13
	v_lshrrev_b32_e32 v11, v8, v2
	v_lshlrev_b32_e32 v8, v8, v11
	v_cmp_ne_u32_e32 vcc, v8, v2
	v_cndmask_b32_e64 v2, 0, 1, vcc
	v_or_b32_e32 v2, v11, v2
	buffer_load_dword v11, off, s[20:23], 0 offset:8 ; 4-byte Folded Reload
	v_add_u32_e32 v7, 0xfffffc10, v7
	v_lshl_or_b32 v8, v7, 12, v0
	v_cmp_gt_i32_e32 vcc, 1, v7
	v_cndmask_b32_e32 v2, v8, v2, vcc
	v_and_b32_e32 v8, 7, v2
	v_cmp_lt_i32_e32 vcc, 5, v8
	v_cmp_eq_u32_e64 s[0:1], 3, v8
	v_lshrrev_b32_e32 v8, 2, v2
	v_cvt_f64_f32_e32 v[2:3], v3
	s_or_b64 vcc, s[0:1], vcc
	v_addc_co_u32_e32 v8, vcc, 0, v8, vcc
	v_mul_f64 v[2:3], v[2:3], s[2:3]
	v_cmp_gt_i32_e32 vcc, 31, v7
	v_cndmask_b32_e32 v8, v13, v8, vcc
	v_cmp_ne_u32_e32 vcc, 0, v0
	v_cndmask_b32_e64 v0, 0, 1, vcc
	v_lshl_or_b32 v0, v0, 9, v13
	v_cmp_eq_u32_e32 vcc, s10, v7
	v_cndmask_b32_e32 v0, v8, v0, vcc
	v_lshrrev_b32_e32 v1, 16, v1
	v_and_or_b32 v7, v1, s12, v0
	v_and_or_b32 v0, v3, s6, v2
	v_cmp_ne_u32_e32 vcc, 0, v0
	v_cndmask_b32_e64 v0, 0, 1, vcc
	v_lshrrev_b32_e32 v1, 8, v3
	v_bfe_u32 v2, v3, 20, 11
	v_and_or_b32 v0, v1, s7, v0
	v_sub_u32_e32 v8, 0x3f1, v2
	v_or_b32_e32 v1, 0x1000, v0
	v_med3_i32 v8, v8, 0, 13
	v_lshrrev_b32_e32 v9, v8, v1
	v_lshlrev_b32_e32 v8, v8, v9
	v_cmp_ne_u32_e32 vcc, v8, v1
	v_cndmask_b32_e64 v1, 0, 1, vcc
	v_add_u32_e32 v2, 0xfffffc10, v2
	v_or_b32_e32 v1, v9, v1
	v_lshl_or_b32 v8, v2, 12, v0
	v_cmp_gt_i32_e32 vcc, 1, v2
	v_cndmask_b32_e32 v1, v8, v1, vcc
	v_and_b32_e32 v8, 7, v1
	v_cmp_lt_i32_e32 vcc, 5, v8
	v_cmp_eq_u32_e64 s[0:1], 3, v8
	v_lshrrev_b32_e32 v8, 16, v10
	v_lshrrev_b32_e32 v1, 2, v1
	s_or_b64 vcc, s[0:1], vcc
	v_addc_co_u32_e32 v1, vcc, 0, v1, vcc
	v_cmp_gt_i32_e32 vcc, 31, v2
	v_cndmask_b32_e32 v1, v13, v1, vcc
	v_cmp_ne_u32_e32 vcc, 0, v0
	v_cndmask_b32_e64 v0, 0, 1, vcc
	v_lshl_or_b32 v0, v0, 9, v13
	v_cmp_eq_u32_e32 vcc, s10, v2
	v_cndmask_b32_e32 v2, v1, v0, vcc
	v_lshrrev_b32_e32 v3, 16, v3
	v_and_or_b32 v2, v3, s12, v2
	v_and_b32_e32 v3, 0xffff, v7
	v_lshl_or_b32 v7, v2, 16, v3
	v_mov_b32_e32 v3, s4
	v_add_co_u32_e32 v2, vcc, s5, v5
	v_addc_co_u32_e32 v3, vcc, v6, v3, vcc
	global_store_dword v[2:3], v7, off
	s_waitcnt vmcnt(1)
	v_mul_f16_sdwa v9, v11, v8 dst_sel:DWORD dst_unused:UNUSED_PAD src0_sel:WORD_1 src1_sel:DWORD
	v_fma_f16 v9, v11, v10, v9
	v_cvt_f32_f16_e32 v9, v9
	v_cvt_f64_f32_e32 v[0:1], v9
	v_mul_f64 v[0:1], v[0:1], s[2:3]
	v_and_or_b32 v0, v1, s6, v0
	v_cmp_ne_u32_e32 vcc, 0, v0
	v_cndmask_b32_e64 v0, 0, 1, vcc
	v_lshrrev_b32_e32 v5, 8, v1
	v_bfe_u32 v6, v1, 20, 11
	v_and_or_b32 v0, v5, s7, v0
	v_sub_u32_e32 v7, 0x3f1, v6
	v_or_b32_e32 v5, 0x1000, v0
	v_med3_i32 v7, v7, 0, 13
	v_lshrrev_b32_e32 v9, v7, v5
	v_lshlrev_b32_e32 v7, v7, v9
	v_cmp_ne_u32_e32 vcc, v7, v5
	v_cndmask_b32_e64 v5, 0, 1, vcc
	v_or_b32_e32 v5, v9, v5
	v_mul_f16_sdwa v9, v11, v10 dst_sel:DWORD dst_unused:UNUSED_PAD src0_sel:WORD_1 src1_sel:DWORD
	buffer_load_dword v10, off, s[20:23], 0 offset:4 ; 4-byte Folded Reload
	v_fma_f16 v8, v11, v8, -v9
	v_add_u32_e32 v7, 0xfffffc10, v6
	v_cvt_f32_f16_e32 v8, v8
	v_lshl_or_b32 v6, v7, 12, v0
	v_cmp_gt_i32_e32 vcc, 1, v7
	v_cndmask_b32_e32 v5, v6, v5, vcc
	v_and_b32_e32 v6, 7, v5
	v_cmp_lt_i32_e32 vcc, 5, v6
	v_cmp_eq_u32_e64 s[0:1], 3, v6
	v_lshrrev_b32_e32 v9, 2, v5
	v_cvt_f64_f32_e32 v[5:6], v8
	s_or_b64 vcc, s[0:1], vcc
	v_addc_co_u32_e32 v8, vcc, 0, v9, vcc
	v_mul_f64 v[5:6], v[5:6], s[2:3]
	v_cmp_gt_i32_e32 vcc, 31, v7
	v_cndmask_b32_e32 v8, v13, v8, vcc
	v_cmp_ne_u32_e32 vcc, 0, v0
	v_cndmask_b32_e64 v0, 0, 1, vcc
	v_lshl_or_b32 v0, v0, 9, v13
	v_cmp_eq_u32_e32 vcc, s10, v7
	v_cndmask_b32_e32 v0, v8, v0, vcc
	v_lshrrev_b32_e32 v1, 16, v1
	v_and_or_b32 v7, v1, s12, v0
	v_and_or_b32 v0, v6, s6, v5
	v_cmp_ne_u32_e32 vcc, 0, v0
	v_cndmask_b32_e64 v0, 0, 1, vcc
	v_lshrrev_b32_e32 v1, 8, v6
	v_bfe_u32 v5, v6, 20, 11
	v_and_or_b32 v0, v1, s7, v0
	v_sub_u32_e32 v8, 0x3f1, v5
	v_or_b32_e32 v1, 0x1000, v0
	v_med3_i32 v8, v8, 0, 13
	v_lshrrev_b32_e32 v9, v8, v1
	v_lshlrev_b32_e32 v8, v8, v9
	v_cmp_ne_u32_e32 vcc, v8, v1
	v_cndmask_b32_e64 v1, 0, 1, vcc
	v_add_u32_e32 v5, 0xfffffc10, v5
	v_or_b32_e32 v1, v9, v1
	v_lshl_or_b32 v8, v5, 12, v0
	v_cmp_gt_i32_e32 vcc, 1, v5
	v_cndmask_b32_e32 v1, v8, v1, vcc
	v_and_b32_e32 v8, 7, v1
	v_cmp_lt_i32_e32 vcc, 5, v8
	v_cmp_eq_u32_e64 s[0:1], 3, v8
	v_lshrrev_b32_e32 v8, 16, v4
	v_lshrrev_b32_e32 v1, 2, v1
	s_or_b64 vcc, s[0:1], vcc
	v_addc_co_u32_e32 v1, vcc, 0, v1, vcc
	v_cmp_gt_i32_e32 vcc, 31, v5
	v_cndmask_b32_e32 v1, v13, v1, vcc
	v_cmp_ne_u32_e32 vcc, 0, v0
	v_cndmask_b32_e64 v0, 0, 1, vcc
	v_lshl_or_b32 v0, v0, 9, v13
	v_cmp_eq_u32_e32 vcc, s10, v5
	v_cndmask_b32_e32 v5, v1, v0, vcc
	v_lshrrev_b32_e32 v6, 16, v6
	v_and_or_b32 v5, v6, s12, v5
	v_and_b32_e32 v6, 0xffff, v7
	v_lshl_or_b32 v5, v5, 16, v6
	v_mov_b32_e32 v6, s4
	v_add_co_u32_e32 v2, vcc, s5, v2
	v_addc_co_u32_e32 v3, vcc, v3, v6, vcc
	global_store_dword v[2:3], v5, off
	s_waitcnt vmcnt(1)
	v_mul_f16_sdwa v9, v10, v8 dst_sel:DWORD dst_unused:UNUSED_PAD src0_sel:WORD_1 src1_sel:DWORD
	v_fma_f16 v9, v10, v4, v9
	v_cvt_f32_f16_e32 v9, v9
	v_mul_f16_sdwa v4, v10, v4 dst_sel:DWORD dst_unused:UNUSED_PAD src0_sel:WORD_1 src1_sel:DWORD
	v_fma_f16 v4, v10, v8, -v4
	v_cvt_f32_f16_e32 v4, v4
	v_cvt_f64_f32_e32 v[0:1], v9
	v_mul_f64 v[0:1], v[0:1], s[2:3]
	v_and_or_b32 v0, v1, s6, v0
	v_cmp_ne_u32_e32 vcc, 0, v0
	v_cndmask_b32_e64 v0, 0, 1, vcc
	v_lshrrev_b32_e32 v5, 8, v1
	v_bfe_u32 v6, v1, 20, 11
	v_and_or_b32 v0, v5, s7, v0
	v_sub_u32_e32 v7, 0x3f1, v6
	v_or_b32_e32 v5, 0x1000, v0
	v_med3_i32 v7, v7, 0, 13
	v_lshrrev_b32_e32 v9, v7, v5
	v_lshlrev_b32_e32 v7, v7, v9
	v_cmp_ne_u32_e32 vcc, v7, v5
	v_cndmask_b32_e64 v5, 0, 1, vcc
	v_or_b32_e32 v5, v9, v5
	buffer_load_dword v9, off, s[20:23], 0  ; 4-byte Folded Reload
	v_add_u32_e32 v6, 0xfffffc10, v6
	v_lshl_or_b32 v7, v6, 12, v0
	v_cmp_gt_i32_e32 vcc, 1, v6
	v_cndmask_b32_e32 v5, v7, v5, vcc
	v_and_b32_e32 v7, 7, v5
	v_cmp_lt_i32_e32 vcc, 5, v7
	v_cmp_eq_u32_e64 s[0:1], 3, v7
	v_lshrrev_b32_e32 v7, 2, v5
	v_cvt_f64_f32_e32 v[4:5], v4
	s_or_b64 vcc, s[0:1], vcc
	v_addc_co_u32_e32 v7, vcc, 0, v7, vcc
	v_mul_f64 v[4:5], v[4:5], s[2:3]
	v_cmp_gt_i32_e32 vcc, 31, v6
	v_cndmask_b32_e32 v7, v13, v7, vcc
	v_cmp_ne_u32_e32 vcc, 0, v0
	v_cndmask_b32_e64 v0, 0, 1, vcc
	v_lshl_or_b32 v0, v0, 9, v13
	v_cmp_eq_u32_e32 vcc, s10, v6
	v_cndmask_b32_e32 v0, v7, v0, vcc
	v_lshrrev_b32_e32 v1, 16, v1
	v_and_or_b32 v6, v1, s12, v0
	v_and_or_b32 v0, v5, s6, v4
	v_cmp_ne_u32_e32 vcc, 0, v0
	v_cndmask_b32_e64 v0, 0, 1, vcc
	v_lshrrev_b32_e32 v1, 8, v5
	v_bfe_u32 v4, v5, 20, 11
	v_and_or_b32 v0, v1, s7, v0
	v_sub_u32_e32 v7, 0x3f1, v4
	v_or_b32_e32 v1, 0x1000, v0
	v_med3_i32 v7, v7, 0, 13
	v_lshrrev_b32_e32 v8, v7, v1
	v_lshlrev_b32_e32 v7, v7, v8
	v_cmp_ne_u32_e32 vcc, v7, v1
	v_cndmask_b32_e64 v1, 0, 1, vcc
	v_add_u32_e32 v4, 0xfffffc10, v4
	v_or_b32_e32 v1, v8, v1
	v_lshl_or_b32 v7, v4, 12, v0
	v_cmp_gt_i32_e32 vcc, 1, v4
	v_cndmask_b32_e32 v1, v7, v1, vcc
	v_and_b32_e32 v7, 7, v1
	v_cmp_lt_i32_e32 vcc, 5, v7
	v_cmp_eq_u32_e64 s[0:1], 3, v7
	v_lshrrev_b32_e32 v7, 16, v12
	v_lshrrev_b32_e32 v1, 2, v1
	s_or_b64 vcc, s[0:1], vcc
	v_addc_co_u32_e32 v1, vcc, 0, v1, vcc
	v_cmp_gt_i32_e32 vcc, 31, v4
	v_cndmask_b32_e32 v1, v13, v1, vcc
	v_cmp_ne_u32_e32 vcc, 0, v0
	v_cndmask_b32_e64 v0, 0, 1, vcc
	v_lshl_or_b32 v0, v0, 9, v13
	v_cmp_eq_u32_e32 vcc, s10, v4
	v_cndmask_b32_e32 v4, v1, v0, vcc
	v_lshrrev_b32_e32 v5, 16, v5
	v_and_or_b32 v4, v5, s12, v4
	v_and_b32_e32 v5, 0xffff, v6
	v_lshl_or_b32 v4, v4, 16, v5
	v_mov_b32_e32 v5, s4
	v_add_co_u32_e32 v2, vcc, s5, v2
	v_addc_co_u32_e32 v3, vcc, v3, v5, vcc
	global_store_dword v[2:3], v4, off
	s_waitcnt vmcnt(1)
	v_mul_f16_sdwa v8, v9, v7 dst_sel:DWORD dst_unused:UNUSED_PAD src0_sel:WORD_1 src1_sel:DWORD
	v_fma_f16 v8, v9, v12, v8
	v_cvt_f32_f16_e32 v8, v8
	v_cvt_f64_f32_e32 v[0:1], v8
	v_mul_f64 v[0:1], v[0:1], s[2:3]
	v_and_or_b32 v0, v1, s6, v0
	v_cmp_ne_u32_e32 vcc, 0, v0
	v_cndmask_b32_e64 v0, 0, 1, vcc
	v_lshrrev_b32_e32 v4, 8, v1
	v_bfe_u32 v5, v1, 20, 11
	v_and_or_b32 v0, v4, s7, v0
	v_sub_u32_e32 v6, 0x3f1, v5
	v_or_b32_e32 v4, 0x1000, v0
	v_med3_i32 v6, v6, 0, 13
	v_lshrrev_b32_e32 v8, v6, v4
	v_lshlrev_b32_e32 v6, v6, v8
	v_cmp_ne_u32_e32 vcc, v6, v4
	v_cndmask_b32_e64 v4, 0, 1, vcc
	v_or_b32_e32 v4, v8, v4
	v_mul_f16_sdwa v8, v9, v12 dst_sel:DWORD dst_unused:UNUSED_PAD src0_sel:WORD_1 src1_sel:DWORD
	v_fma_f16 v7, v9, v7, -v8
	v_add_u32_e32 v6, 0xfffffc10, v5
	v_cvt_f32_f16_e32 v7, v7
	v_lshl_or_b32 v5, v6, 12, v0
	v_cmp_gt_i32_e32 vcc, 1, v6
	v_cndmask_b32_e32 v4, v5, v4, vcc
	v_and_b32_e32 v5, 7, v4
	v_cmp_lt_i32_e32 vcc, 5, v5
	v_cmp_eq_u32_e64 s[0:1], 3, v5
	v_lshrrev_b32_e32 v8, 2, v4
	v_cvt_f64_f32_e32 v[4:5], v7
	s_or_b64 vcc, s[0:1], vcc
	v_addc_co_u32_e32 v7, vcc, 0, v8, vcc
	v_mul_f64 v[4:5], v[4:5], s[2:3]
	v_cmp_gt_i32_e32 vcc, 31, v6
	v_cndmask_b32_e32 v7, v13, v7, vcc
	v_cmp_ne_u32_e32 vcc, 0, v0
	v_cndmask_b32_e64 v0, 0, 1, vcc
	v_lshl_or_b32 v0, v0, 9, v13
	v_cmp_eq_u32_e32 vcc, s10, v6
	v_cndmask_b32_e32 v0, v7, v0, vcc
	v_lshrrev_b32_e32 v1, 16, v1
	v_and_or_b32 v0, v1, s12, v0
	v_and_or_b32 v1, v5, s6, v4
	v_cmp_ne_u32_e32 vcc, 0, v1
	v_cndmask_b32_e64 v1, 0, 1, vcc
	v_lshrrev_b32_e32 v4, 8, v5
	v_bfe_u32 v6, v5, 20, 11
	v_and_or_b32 v1, v4, s7, v1
	v_sub_u32_e32 v7, 0x3f1, v6
	v_or_b32_e32 v4, 0x1000, v1
	v_med3_i32 v7, v7, 0, 13
	v_lshrrev_b32_e32 v8, v7, v4
	v_lshlrev_b32_e32 v7, v7, v8
	v_cmp_ne_u32_e32 vcc, v7, v4
	v_cndmask_b32_e64 v4, 0, 1, vcc
	v_add_u32_e32 v6, 0xfffffc10, v6
	v_or_b32_e32 v4, v8, v4
	v_lshl_or_b32 v7, v6, 12, v1
	v_cmp_gt_i32_e32 vcc, 1, v6
	v_cndmask_b32_e32 v4, v7, v4, vcc
	v_and_b32_e32 v7, 7, v4
	v_cmp_lt_i32_e32 vcc, 5, v7
	v_cmp_eq_u32_e64 s[0:1], 3, v7
	v_lshrrev_b32_e32 v4, 2, v4
	s_or_b64 vcc, s[0:1], vcc
	v_addc_co_u32_e32 v4, vcc, 0, v4, vcc
	v_cmp_gt_i32_e32 vcc, 31, v6
	v_cndmask_b32_e32 v4, v13, v4, vcc
	v_cmp_ne_u32_e32 vcc, 0, v1
	v_cndmask_b32_e64 v1, 0, 1, vcc
	v_lshl_or_b32 v1, v1, 9, v13
	v_cmp_eq_u32_e32 vcc, s10, v6
	v_cndmask_b32_e32 v1, v4, v1, vcc
	v_lshrrev_b32_e32 v4, 16, v5
	v_and_or_b32 v1, v4, s12, v1
	v_and_b32_e32 v0, 0xffff, v0
	v_lshl_or_b32 v4, v1, 16, v0
	v_mov_b32_e32 v1, s4
	v_add_co_u32_e32 v0, vcc, s5, v2
	v_addc_co_u32_e32 v1, vcc, v3, v1, vcc
	global_store_dword v[0:1], v4, off
.LBB0_2:
	s_endpgm
	.section	.rodata,"a",@progbits
	.p2align	6, 0x0
	.amdhsa_kernel bluestein_single_fwd_len12288_dim1_half_op_CI_CI
		.amdhsa_group_segment_fixed_size 49152
		.amdhsa_private_segment_fixed_size 36
		.amdhsa_kernarg_size 104
		.amdhsa_user_sgpr_count 6
		.amdhsa_user_sgpr_private_segment_buffer 1
		.amdhsa_user_sgpr_dispatch_ptr 0
		.amdhsa_user_sgpr_queue_ptr 0
		.amdhsa_user_sgpr_kernarg_segment_ptr 1
		.amdhsa_user_sgpr_dispatch_id 0
		.amdhsa_user_sgpr_flat_scratch_init 0
		.amdhsa_user_sgpr_private_segment_size 0
		.amdhsa_uses_dynamic_stack 0
		.amdhsa_system_sgpr_private_segment_wavefront_offset 1
		.amdhsa_system_sgpr_workgroup_id_x 1
		.amdhsa_system_sgpr_workgroup_id_y 0
		.amdhsa_system_sgpr_workgroup_id_z 0
		.amdhsa_system_sgpr_workgroup_info 0
		.amdhsa_system_vgpr_workitem_id 0
		.amdhsa_next_free_vgpr 128
		.amdhsa_next_free_sgpr 24
		.amdhsa_reserve_vcc 1
		.amdhsa_reserve_flat_scratch 0
		.amdhsa_float_round_mode_32 0
		.amdhsa_float_round_mode_16_64 0
		.amdhsa_float_denorm_mode_32 3
		.amdhsa_float_denorm_mode_16_64 3
		.amdhsa_dx10_clamp 1
		.amdhsa_ieee_mode 1
		.amdhsa_fp16_overflow 0
		.amdhsa_exception_fp_ieee_invalid_op 0
		.amdhsa_exception_fp_denorm_src 0
		.amdhsa_exception_fp_ieee_div_zero 0
		.amdhsa_exception_fp_ieee_overflow 0
		.amdhsa_exception_fp_ieee_underflow 0
		.amdhsa_exception_fp_ieee_inexact 0
		.amdhsa_exception_int_div_zero 0
	.end_amdhsa_kernel
	.text
.Lfunc_end0:
	.size	bluestein_single_fwd_len12288_dim1_half_op_CI_CI, .Lfunc_end0-bluestein_single_fwd_len12288_dim1_half_op_CI_CI
                                        ; -- End function
	.section	.AMDGPU.csdata,"",@progbits
; Kernel info:
; codeLenInByte = 35896
; NumSgprs: 28
; NumVgprs: 128
; ScratchSize: 36
; MemoryBound: 0
; FloatMode: 240
; IeeeMode: 1
; LDSByteSize: 49152 bytes/workgroup (compile time only)
; SGPRBlocks: 3
; VGPRBlocks: 31
; NumSGPRsForWavesPerEU: 28
; NumVGPRsForWavesPerEU: 128
; Occupancy: 2
; WaveLimiterHint : 1
; COMPUTE_PGM_RSRC2:SCRATCH_EN: 1
; COMPUTE_PGM_RSRC2:USER_SGPR: 6
; COMPUTE_PGM_RSRC2:TRAP_HANDLER: 0
; COMPUTE_PGM_RSRC2:TGID_X_EN: 1
; COMPUTE_PGM_RSRC2:TGID_Y_EN: 0
; COMPUTE_PGM_RSRC2:TGID_Z_EN: 0
; COMPUTE_PGM_RSRC2:TIDIG_COMP_CNT: 0
	.type	__hip_cuid_b3ec8a696e6c789b,@object ; @__hip_cuid_b3ec8a696e6c789b
	.section	.bss,"aw",@nobits
	.globl	__hip_cuid_b3ec8a696e6c789b
__hip_cuid_b3ec8a696e6c789b:
	.byte	0                               ; 0x0
	.size	__hip_cuid_b3ec8a696e6c789b, 1

	.ident	"AMD clang version 19.0.0git (https://github.com/RadeonOpenCompute/llvm-project roc-6.4.0 25133 c7fe45cf4b819c5991fe208aaa96edf142730f1d)"
	.section	".note.GNU-stack","",@progbits
	.addrsig
	.addrsig_sym __hip_cuid_b3ec8a696e6c789b
	.amdgpu_metadata
---
amdhsa.kernels:
  - .args:
      - .actual_access:  read_only
        .address_space:  global
        .offset:         0
        .size:           8
        .value_kind:     global_buffer
      - .actual_access:  read_only
        .address_space:  global
        .offset:         8
        .size:           8
        .value_kind:     global_buffer
      - .actual_access:  read_only
        .address_space:  global
        .offset:         16
        .size:           8
        .value_kind:     global_buffer
      - .actual_access:  read_only
        .address_space:  global
        .offset:         24
        .size:           8
        .value_kind:     global_buffer
      - .actual_access:  read_only
        .address_space:  global
        .offset:         32
        .size:           8
        .value_kind:     global_buffer
      - .offset:         40
        .size:           8
        .value_kind:     by_value
      - .address_space:  global
        .offset:         48
        .size:           8
        .value_kind:     global_buffer
      - .address_space:  global
        .offset:         56
        .size:           8
        .value_kind:     global_buffer
      - .address_space:  global
        .offset:         64
        .size:           8
        .value_kind:     global_buffer
      - .address_space:  global
        .offset:         72
        .size:           8
        .value_kind:     global_buffer
      - .offset:         80
        .size:           4
        .value_kind:     by_value
      - .address_space:  global
        .offset:         88
        .size:           8
        .value_kind:     global_buffer
      - .address_space:  global
        .offset:         96
        .size:           8
        .value_kind:     global_buffer
    .group_segment_fixed_size: 49152
    .kernarg_segment_align: 8
    .kernarg_segment_size: 104
    .language:       OpenCL C
    .language_version:
      - 2
      - 0
    .max_flat_workgroup_size: 512
    .name:           bluestein_single_fwd_len12288_dim1_half_op_CI_CI
    .private_segment_fixed_size: 36
    .sgpr_count:     28
    .sgpr_spill_count: 0
    .symbol:         bluestein_single_fwd_len12288_dim1_half_op_CI_CI.kd
    .uniform_work_group_size: 1
    .uses_dynamic_stack: false
    .vgpr_count:     128
    .vgpr_spill_count: 8
    .wavefront_size: 64
amdhsa.target:   amdgcn-amd-amdhsa--gfx906
amdhsa.version:
  - 1
  - 2
...

	.end_amdgpu_metadata
